;; amdgpu-corpus repo=ROCm/bitsandbytes kind=harvested arch=n/a opt=n/a
	.text
	.amdgcn_target "amdgcn-amd-amdhsa--gfx90a"
	.amdhsa_code_object_version 6
	.protected	_Z38kPreconditionOptimizerStatic8bit2StateIfLi0EEvPT_S1_PhS2_PffffiS3_S3_S3_S3_S3_S3_fi ; -- Begin function _Z38kPreconditionOptimizerStatic8bit2StateIfLi0EEvPT_S1_PhS2_PffffiS3_S3_S3_S3_S3_S3_fi
	.globl	_Z38kPreconditionOptimizerStatic8bit2StateIfLi0EEvPT_S1_PhS2_PffffiS3_S3_S3_S3_S3_S3_fi
	.p2align	8
	.type	_Z38kPreconditionOptimizerStatic8bit2StateIfLi0EEvPT_S1_PhS2_PffffiS3_S3_S3_S3_S3_S3_fi,@function
_Z38kPreconditionOptimizerStatic8bit2StateIfLi0EEvPT_S1_PhS2_PffffiS3_S3_S3_S3_S3_S3_fi: ; @_Z38kPreconditionOptimizerStatic8bit2StateIfLi0EEvPT_S1_PhS2_PffffiS3_S3_S3_S3_S3_S3_fi
; %bb.0:
	s_load_dword s2, s[4:5], 0x70
	s_load_dword s3, s[4:5], 0x7c
	s_movk_i32 s0, 0x100
	v_cmp_gt_u32_e32 vcc, s0, v0
	s_and_saveexec_b64 s[0:1], vcc
	s_cbranch_execz .LBB91_2
; %bb.1:
	s_load_dwordx4 s[8:11], s[4:5], 0x38
	v_lshlrev_b32_e32 v1, 2, v0
	s_waitcnt lgkmcnt(0)
	global_load_dword v2, v1, s[8:9]
	global_load_dword v3, v1, s[10:11]
	s_waitcnt vmcnt(0)
	ds_write2st64_b32 v1, v2, v3 offset0:66 offset1:70
.LBB91_2:
	s_or_b64 exec, exec, s[0:1]
	s_load_dwordx2 s[64:65], s[4:5], 0x68
	s_waitcnt lgkmcnt(0)
	s_and_b32 s0, 0xffff, s3
	s_mul_i32 s0, s6, s0
	s_lshl_b32 s33, s2, 12
	s_lshl_b32 s8, s0, 2
	s_cmp_lt_u32 s8, s33
	s_mov_b32 s2, 0
	v_mbcnt_lo_u32_b32 v1, -1, 0
	s_barrier
	s_cbranch_scc1 .LBB91_4
; %bb.3:
	s_lshl_b32 s0, s6, 12
	s_sub_i32 s0, s65, s0
	s_min_u32 s61, s0, 0x1000
	v_and_b32_e32 v49, 0xc0, v0
	s_mov_b64 s[0:1], 0
	s_mov_b32 s3, 0xff7fffff
	s_branch .LBB91_5
.LBB91_4:
	s_mov_b64 s[0:1], -1
                                        ; implicit-def: $sgpr3
                                        ; implicit-def: $sgpr61
                                        ; implicit-def: $sgpr2
                                        ; implicit-def: $vgpr49
.LBB91_5:
	s_load_dwordx2 s[34:35], s[4:5], 0x20
	s_load_dwordx8 s[52:59], s[4:5], 0x48
	v_mbcnt_hi_u32_b32 v48, -1, v1
	s_andn2_b64 vcc, exec, s[0:1]
	v_mov_b32_e32 v108, s3
	v_mov_b32_e32 v107, s2
	;; [unrolled: 1-line block ×3, first 2 shown]
	s_cbranch_vccnz .LBB91_106
; %bb.6:
	s_load_dwordx4 s[0:3], s[4:5], 0x8
	s_load_dwordx2 s[6:7], s[4:5], 0x18
	s_load_dwordx4 s[60:63], s[4:5], 0x28
	v_lshlrev_b32_e32 v1, 4, v0
	v_lshlrev_b32_e32 v3, 2, v48
	v_and_b32_e32 v2, 0xc00, v1
	s_waitcnt lgkmcnt(0)
	v_mov_b32_e32 v4, s1
	v_add_co_u32_e32 v3, vcc, s0, v3
	v_addc_co_u32_e32 v4, vcc, 0, v4, vcc
	v_lshlrev_b32_e32 v5, 2, v2
	v_or_b32_e32 v52, v48, v2
	v_add_co_u32_e32 v50, vcc, v3, v5
	v_add_u32_e32 v53, 64, v52
	v_lshrrev_b32_e32 v3, 5, v52
	v_addc_co_u32_e32 v51, vcc, 0, v4, vcc
	v_or_b32_e32 v54, 0x80, v52
	v_add_lshl_u32 v68, v3, v52, 2
	v_lshrrev_b32_e32 v4, 5, v53
	v_and_b32_e32 v3, 0x60, v3
	v_add_u32_e32 v55, 0xc0, v52
	v_lshrrev_b32_e32 v5, 5, v54
	v_add_u32_e32 v87, v3, v52
	v_and_b32_e32 v3, 0x64, v4
	v_or_b32_e32 v56, 0x100, v52
	v_lshrrev_b32_e32 v6, 5, v55
	v_add_u32_e32 v88, v3, v53
	v_and_b32_e32 v3, 0x64, v5
	v_add_u32_e32 v57, 0x140, v52
	v_lshrrev_b32_e32 v7, 5, v56
	v_add_u32_e32 v89, v3, v54
	v_and_b32_e32 v3, 0x6c, v6
	v_or_b32_e32 v58, 0x180, v52
	v_lshrrev_b32_e32 v8, 5, v57
	v_add_u32_e32 v90, v3, v55
	;; [unrolled: 8-line block ×6, first 2 shown]
	v_and_b32_e32 v3, 0x78, v15
	v_add_u32_e32 v67, 0x3c0, v52
	v_lshrrev_b32_e32 v17, 5, v66
	v_and_b32_e32 v49, 0xc0, v0
	v_mov_b32_e32 v21, s3
	v_add_co_u32_e32 v22, vcc, s2, v48
	v_add_u32_e32 v99, v3, v64
	v_and_b32_e32 v3, 0x7c, v16
	v_lshrrev_b32_e32 v18, 5, v67
	v_add_u32_e32 v19, v48, v49
	v_addc_co_u32_e32 v21, vcc, 0, v21, vcc
	v_add_u32_e32 v100, v3, v65
	v_and_b32_e32 v3, 0x7c, v17
	v_lshlrev_b32_e32 v20, 4, v19
	v_bfe_u32 v19, v19, 1, 27
	v_add_co_u32_e32 v85, vcc, v22, v2
	v_add_u32_e32 v101, v3, v66
	v_and_b32_e32 v3, 0xfc, v18
	v_addc_co_u32_e32 v86, vcc, 0, v21, vcc
	v_add_u32_e32 v102, v3, v67
	v_and_b32_e32 v3, 0xfc, v19
	v_add_lshl_u32 v69, v4, v53, 2
	v_add_u32_e32 v103, v3, v20
	v_mov_b32_e32 v3, s7
	v_add_co_u32_e32 v4, vcc, s6, v48
	v_addc_co_u32_e32 v3, vcc, 0, v3, vcc
	v_cvt_f32_i32_e32 v21, s63
	v_add_co_u32_e32 v104, vcc, v4, v2
	v_addc_co_u32_e32 v105, vcc, 0, v3, vcc
	v_cmp_neq_f32_e64 vcc, s60, 1.0
	v_cndmask_b32_e32 v22, 1.0, v21, vcc
	v_add_lshl_u32 v84, v19, v20, 2
	v_mov_b32_e32 v20, s60
	v_cmp_eq_f32_e32 vcc, 0, v22
	v_cndmask_b32_e64 v23, |v20|, 1.0, vcc
	v_frexp_mant_f32_e32 v2, v23
	s_mov_b32 s10, 0x3f2aaaab
	v_cmp_gt_f32_e64 s[0:1], s10, v2
	v_cndmask_b32_e64 v3, 1.0, 2.0, s[0:1]
	v_mul_f32_e32 v2, v2, v3
	v_add_lshl_u32 v70, v5, v54, 2
	v_add_f32_e32 v5, 1.0, v2
	v_add_lshl_u32 v75, v10, v59, 2
	v_rcp_f32_e32 v10, v5
	v_add_f32_e32 v3, -1.0, v5
	v_add_lshl_u32 v72, v7, v56, 2
	v_sub_f32_e32 v7, v2, v3
	v_add_f32_e32 v3, -1.0, v2
	v_add_lshl_u32 v76, v11, v60, 2
	v_mul_f32_e32 v11, v3, v10
	v_mul_f32_e32 v4, v5, v11
	v_add_lshl_u32 v71, v6, v55, 2
	v_fma_f32 v6, v11, v5, -v4
	v_fmac_f32_e32 v6, v11, v7
	v_add_f32_e32 v2, v4, v6
	v_sub_f32_e32 v5, v3, v2
	v_add_lshl_u32 v73, v8, v57, 2
	v_add_lshl_u32 v74, v9, v58, 2
	v_pk_add_f32 v[8:9], v[2:3], v[4:5] neg_lo:[0,1] neg_hi:[0,1]
	v_mov_b32_e32 v7, v2
	v_pk_add_f32 v[2:3], v[8:9], v[6:7] neg_lo:[0,1] neg_hi:[0,1]
	v_add_f32_e32 v2, v2, v3
	v_add_f32_e32 v2, v5, v2
	v_mul_f32_e32 v3, v10, v2
	v_add_f32_e32 v2, v11, v3
	v_sub_f32_e32 v4, v2, v11
	v_add_lshl_u32 v77, v12, v61, 2
	v_sub_f32_e32 v12, v3, v4
	v_mul_f32_e32 v3, v2, v2
	v_fma_f32 v5, v2, v2, -v3
	v_add_f32_e32 v4, v12, v12
	v_fmac_f32_e32 v5, v2, v4
	v_add_f32_e32 v4, v3, v5
	v_mov_b32_e32 v6, 0x3e91f4c4
	v_fmac_f32_e32 v6, 0x3e76c4e1, v4
	v_mov_b32_e32 v24, 0x3ecccdef
	v_fma_f32 v6, v4, v6, v24
	v_sub_f32_e32 v3, v4, v3
	v_add_lshl_u32 v78, v13, v62, 2
	v_sub_f32_e32 v13, v5, v3
	v_mul_f32_e32 v3, v4, v6
	v_fma_f32 v5, v4, v6, -v3
	v_fmac_f32_e32 v5, v13, v6
	v_add_f32_e32 v6, v3, v5
	v_add_f32_e32 v7, 0x3f2aaaaa, v6
	v_sub_f32_e32 v3, v6, v3
	v_sub_f32_e32 v3, v5, v3
	v_add_f32_e32 v5, 0xbf2aaaaa, v7
	v_add_f32_e32 v3, 0x31739010, v3
	v_sub_f32_e32 v5, v6, v5
	v_pk_mul_f32 v[8:9], v[2:3], v[4:5]
	v_fma_f32 v6, v4, v2, -v8
	v_pk_add_f32 v[10:11], v[2:3], v[4:5]
	v_fmac_f32_e32 v6, v4, v12
	v_mov_b32_e32 v9, v11
	v_fmac_f32_e32 v6, v13, v2
	v_pk_add_f32 v[4:5], v[8:9], v[6:7]
	v_sub_f32_e32 v3, v4, v8
	v_sub_f32_e32 v3, v6, v3
	;; [unrolled: 1-line block ×3, first 2 shown]
	v_add_f32_e32 v9, v11, v6
	v_mov_b32_e32 v6, v5
	v_pk_mul_f32 v[6:7], v[4:5], v[6:7]
	v_cvt_f64_f32_e32 v[10:11], v23
	v_frexp_exp_i32_f64_e32 v7, v[10:11]
	v_subbrev_co_u32_e64 v7, s[0:1], 0, v7, s[0:1]
	v_cvt_f32_i32_e32 v7, v7
	v_fma_f32 v8, v4, v5, -v6
	v_fmac_f32_e32 v8, v4, v9
	s_mov_b32 s11, 0x3f317218
	v_mul_f32_e32 v4, 0x3f317218, v7
	v_fmac_f32_e32 v8, v3, v5
	v_fma_f32 v10, v7, s11, -v4
	v_fmac_f32_e32 v10, 0xb102e308, v7
	v_ldexp_f32 v11, v2, 1
	v_add_f32_e32 v5, v6, v8
	v_pk_add_f32 v[2:3], v[4:5], v[10:11]
	v_add_lshl_u32 v79, v14, v63, 2
	v_ldexp_f32 v14, v12, 1
	v_mov_b32_e32 v12, v5
	v_mov_b32_e32 v13, v3
	;; [unrolled: 1-line block ×3, first 2 shown]
	v_pk_add_f32 v[6:7], v[12:13], v[6:7] neg_lo:[0,1] neg_hi:[0,1]
	v_mov_b32_e32 v9, v5
	v_pk_add_f32 v[6:7], v[8:9], v[6:7] neg_lo:[0,1] neg_hi:[0,1]
	v_add_f32_e32 v5, v14, v6
	v_add_f32_e32 v5, v5, v7
	v_pk_add_f32 v[6:7], v[2:3], v[4:5] neg_lo:[0,1] neg_hi:[0,1]
	v_pk_add_f32 v[8:9], v[2:3], v[4:5]
	v_mov_b32_e32 v12, v6
	v_mov_b32_e32 v13, v9
	;; [unrolled: 1-line block ×3, first 2 shown]
	v_pk_add_f32 v[12:13], v[10:11], v[12:13]
	v_mov_b32_e32 v4, v13
	v_add_lshl_u32 v80, v15, v64, 2
	v_pk_add_f32 v[14:15], v[4:5], v[2:3] neg_lo:[0,1] neg_hi:[0,1]
	v_mov_b32_e32 v15, v14
	v_mov_b32_e32 v12, v9
	;; [unrolled: 1-line block ×4, first 2 shown]
	v_add_lshl_u32 v81, v16, v65, 2
	v_add_lshl_u32 v82, v17, v66, 2
	v_pk_add_f32 v[6:7], v[10:11], v[6:7] neg_lo:[0,1] neg_hi:[0,1]
	v_pk_add_f32 v[16:17], v[8:9], v[14:15] neg_lo:[0,1] neg_hi:[0,1]
	;; [unrolled: 1-line block ×3, first 2 shown]
	v_mov_b32_e32 v10, v5
	v_pk_add_f32 v[2:3], v[10:11], v[2:3] neg_lo:[0,1] neg_hi:[0,1]
	v_mov_b32_e32 v16, v6
	v_pk_add_f32 v[8:9], v[16:17], v[2:3]
	v_mov_b32_e32 v10, v9
	v_pk_add_f32 v[10:11], v[8:9], v[10:11]
	v_pk_add_f32 v[4:5], v[4:5], v[10:11]
	v_mov_b32_e32 v7, v13
	v_mov_b32_e32 v9, v4
	v_pk_add_f32 v[12:13], v[8:9], v[6:7] neg_lo:[0,1] neg_hi:[0,1]
	v_mov_b32_e32 v3, v10
	v_sub_f32_e32 v5, v8, v12
	v_pk_add_f32 v[2:3], v[2:3], v[12:13] neg_lo:[0,1] neg_hi:[0,1]
	v_sub_f32_e32 v5, v6, v5
	v_add_f32_e32 v2, v2, v5
	v_add_f32_e32 v2, v2, v3
	;; [unrolled: 1-line block ×3, first 2 shown]
	v_sub_f32_e32 v4, v3, v4
	v_sub_f32_e32 v2, v2, v4
	v_mul_f32_e32 v4, v22, v3
	v_fma_f32 v3, v22, v3, -v4
	v_fmac_f32_e32 v3, v22, v2
	s_movk_i32 s7, 0x204
	v_add_f32_e32 v2, v4, v3
	v_cmp_class_f32_e64 s[0:1], v4, s7
	v_sub_f32_e32 v5, v2, v4
	v_cndmask_b32_e64 v2, v2, v4, s[0:1]
	s_mov_b32 s9, 0x42b17218
	v_mov_b32_e32 v25, 0x37000000
	v_cmp_eq_f32_e64 s[0:1], s9, v2
	v_cndmask_b32_e64 v4, 0, v25, s[0:1]
	v_sub_f32_e32 v3, v3, v5
	v_sub_f32_e32 v5, v2, v4
	s_mov_b32 s12, 0x3fb8aa3b
	v_mul_f32_e32 v6, 0x3fb8aa3b, v5
	v_fma_f32 v7, v5, s12, -v6
	v_rndne_f32_e32 v8, v6
	v_fmac_f32_e32 v7, 0x32a5705f, v5
	v_sub_f32_e32 v6, v6, v8
	v_add_f32_e32 v6, v6, v7
	v_exp_f32_e32 v6, v6
	v_cvt_i32_f32_e32 v7, v8
	s_mov_b32 s6, 0x7f800000
	v_cmp_neq_f32_e64 s[0:1], |v2|, s6
	s_mov_b32 s13, 0xc2ce8ed0
	v_cndmask_b32_e64 v2, 0, v3, s[0:1]
	v_ldexp_f32 v3, v6, v7
	v_cmp_ngt_f32_e64 s[0:1], s13, v5
	v_cndmask_b32_e64 v3, 0, v3, s[0:1]
	v_mov_b32_e32 v26, 0x7f800000
	v_cmp_nlt_f32_e64 s[0:1], s9, v5
	v_add_f32_e32 v2, v4, v2
	v_cndmask_b32_e64 v3, v26, v3, s[0:1]
	v_fma_f32 v2, v3, v2, v3
	v_cmp_class_f32_e64 s[0:1], v3, s7
	v_cndmask_b32_e64 v2, v2, v3, s[0:1]
	v_trunc_f32_e32 v3, v22
	v_cndmask_b32_e64 v27, v20, 1.0, vcc
	v_cmp_eq_f32_e32 vcc, v3, v22
	v_mul_f32_e32 v3, 0.5, v22
	v_trunc_f32_e32 v4, v3
	s_cmp_lg_u64 s[34:35], 0
	v_cmp_neq_f32_e64 s[0:1], v4, v3
	s_cselect_b64 s[66:67], -1, 0
	s_and_b64 s[0:1], vcc, s[0:1]
	v_cndmask_b32_e64 v3, 1.0, v27, s[0:1]
	s_brev_b32 s14, -2
	v_mov_b32_e32 v28, 0x7fc00000
	v_bfi_b32 v2, s14, v2, v3
	v_cmp_eq_f32_e64 s[2:3], 0, v27
	v_cmp_gt_f32_e64 s[4:5], 0, v22
	v_cndmask_b32_e32 v3, v28, v2, vcc
	v_cmp_gt_f32_e32 vcc, 0, v27
	s_xor_b64 s[4:5], s[4:5], s[2:3]
	v_cndmask_b32_e32 v2, v2, v3, vcc
	v_cmp_eq_f32_e32 vcc, s6, v23
	v_cndmask_b32_e64 v3, v26, 0, s[4:5]
	v_cndmask_b32_e64 v4, 0, v27, s[0:1]
	v_bfi_b32 v3, s14, v3, v4
	s_or_b64 vcc, vcc, s[2:3]
	v_cndmask_b32_e32 v2, v2, v3, vcc
	v_sub_f32_e32 v22, 1.0, v2
	v_div_scale_f32 v2, s[0:1], v22, v22, 1.0
	v_rcp_f32_e32 v3, v2
	v_add_lshl_u32 v83, v18, v67, 2
	v_mov_b32_e32 v18, s61
	v_mov_b32_e32 v10, 0x3e91f4c4
	v_fma_f32 v4, -v2, v3, 1.0
	v_fmac_f32_e32 v3, v4, v3
	v_div_scale_f32 v4, vcc, 1.0, v22, 1.0
	v_mul_f32_e32 v5, v4, v3
	v_fma_f32 v6, -v2, v5, v4
	v_fmac_f32_e32 v5, v6, v3
	v_fma_f32 v2, -v2, v5, v4
	v_div_fmas_f32 v23, v2, v3, v5
	v_cmp_neq_f32_e64 vcc, s61, 1.0
	v_cndmask_b32_e32 v21, 1.0, v21, vcc
	v_cmp_eq_f32_e32 vcc, 0, v21
	v_cndmask_b32_e64 v29, |v18|, 1.0, vcc
	v_frexp_mant_f32_e32 v2, v29
	v_cmp_gt_f32_e64 s[0:1], s10, v2
	v_cndmask_b32_e64 v3, 1.0, 2.0, s[0:1]
	v_mul_f32_e32 v2, v2, v3
	v_add_f32_e32 v5, 1.0, v2
	v_rcp_f32_e32 v11, v5
	v_add_f32_e32 v3, -1.0, v5
	v_sub_f32_e32 v7, v2, v3
	v_add_f32_e32 v3, -1.0, v2
	v_mul_f32_e32 v12, v3, v11
	v_mul_f32_e32 v4, v5, v12
	v_fma_f32 v6, v12, v5, -v4
	v_fmac_f32_e32 v6, v12, v7
	v_add_f32_e32 v2, v4, v6
	v_sub_f32_e32 v5, v3, v2
	v_pk_add_f32 v[8:9], v[2:3], v[4:5] neg_lo:[0,1] neg_hi:[0,1]
	v_mov_b32_e32 v7, v2
	v_pk_add_f32 v[2:3], v[8:9], v[6:7] neg_lo:[0,1] neg_hi:[0,1]
	v_add_f32_e32 v2, v2, v3
	v_add_f32_e32 v2, v5, v2
	v_mul_f32_e32 v3, v11, v2
	v_add_f32_e32 v2, v12, v3
	v_sub_f32_e32 v4, v2, v12
	v_sub_f32_e32 v12, v3, v4
	v_mul_f32_e32 v3, v2, v2
	v_fma_f32 v5, v2, v2, -v3
	v_add_f32_e32 v4, v12, v12
	v_fmac_f32_e32 v5, v2, v4
	v_add_f32_e32 v4, v3, v5
	v_fmac_f32_e32 v10, 0x3e76c4e1, v4
	v_fmac_f32_e32 v24, v4, v10
	v_sub_f32_e32 v3, v4, v3
	v_sub_f32_e32 v13, v5, v3
	v_mul_f32_e32 v3, v4, v24
	v_fma_f32 v5, v4, v24, -v3
	v_fmac_f32_e32 v5, v13, v24
	v_add_f32_e32 v6, v3, v5
	v_add_f32_e32 v7, 0x3f2aaaaa, v6
	v_sub_f32_e32 v3, v6, v3
	v_sub_f32_e32 v3, v5, v3
	v_add_f32_e32 v5, 0xbf2aaaaa, v7
	v_add_f32_e32 v3, 0x31739010, v3
	v_sub_f32_e32 v5, v6, v5
	v_pk_mul_f32 v[8:9], v[2:3], v[4:5]
	v_fma_f32 v6, v4, v2, -v8
	v_pk_add_f32 v[10:11], v[2:3], v[4:5]
	v_fmac_f32_e32 v6, v4, v12
	v_mov_b32_e32 v9, v11
	v_fmac_f32_e32 v6, v13, v2
	v_pk_add_f32 v[4:5], v[8:9], v[6:7]
	v_sub_f32_e32 v3, v4, v8
	v_sub_f32_e32 v3, v6, v3
	;; [unrolled: 1-line block ×3, first 2 shown]
	v_add_f32_e32 v10, v11, v6
	v_mov_b32_e32 v6, v5
	v_pk_mul_f32 v[6:7], v[4:5], v[6:7]
	v_cvt_f64_f32_e32 v[8:9], v29
	v_frexp_exp_i32_f64_e32 v7, v[8:9]
	v_subbrev_co_u32_e64 v7, s[0:1], 0, v7, s[0:1]
	v_cvt_f32_i32_e32 v7, v7
	v_fma_f32 v8, v4, v5, -v6
	v_fmac_f32_e32 v8, v4, v10
	v_fmac_f32_e32 v8, v3, v5
	v_mul_f32_e32 v4, 0x3f317218, v7
	v_fma_f32 v10, v7, s11, -v4
	v_fmac_f32_e32 v10, 0xb102e308, v7
	v_ldexp_f32 v11, v2, 1
	v_add_f32_e32 v5, v6, v8
	v_pk_add_f32 v[2:3], v[4:5], v[10:11]
	v_ldexp_f32 v14, v12, 1
	v_mov_b32_e32 v12, v5
	v_mov_b32_e32 v13, v3
	;; [unrolled: 1-line block ×3, first 2 shown]
	v_pk_add_f32 v[6:7], v[12:13], v[6:7] neg_lo:[0,1] neg_hi:[0,1]
	v_mov_b32_e32 v9, v5
	v_pk_add_f32 v[6:7], v[8:9], v[6:7] neg_lo:[0,1] neg_hi:[0,1]
	v_add_f32_e32 v5, v14, v6
	v_add_f32_e32 v5, v5, v7
	v_pk_add_f32 v[6:7], v[2:3], v[4:5] neg_lo:[0,1] neg_hi:[0,1]
	v_pk_add_f32 v[8:9], v[2:3], v[4:5]
	v_mov_b32_e32 v12, v6
	v_mov_b32_e32 v13, v9
	;; [unrolled: 1-line block ×3, first 2 shown]
	v_pk_add_f32 v[12:13], v[10:11], v[12:13]
	v_mov_b32_e32 v4, v13
	v_pk_add_f32 v[14:15], v[4:5], v[2:3] neg_lo:[0,1] neg_hi:[0,1]
	v_mov_b32_e32 v15, v14
	v_mov_b32_e32 v12, v9
	v_mov_b32_e32 v2, v3
	v_mov_b32_e32 v3, v14
	v_pk_add_f32 v[6:7], v[10:11], v[6:7] neg_lo:[0,1] neg_hi:[0,1]
	v_pk_add_f32 v[16:17], v[8:9], v[14:15] neg_lo:[0,1] neg_hi:[0,1]
	;; [unrolled: 1-line block ×3, first 2 shown]
	v_mov_b32_e32 v10, v5
	v_pk_add_f32 v[2:3], v[10:11], v[2:3] neg_lo:[0,1] neg_hi:[0,1]
	v_mov_b32_e32 v16, v6
	v_pk_add_f32 v[8:9], v[16:17], v[2:3]
	v_mov_b32_e32 v10, v9
	v_pk_add_f32 v[10:11], v[8:9], v[10:11]
	v_pk_add_f32 v[4:5], v[4:5], v[10:11]
	v_mov_b32_e32 v7, v13
	v_mov_b32_e32 v9, v4
	v_pk_add_f32 v[12:13], v[8:9], v[6:7] neg_lo:[0,1] neg_hi:[0,1]
	v_mov_b32_e32 v3, v10
	v_sub_f32_e32 v5, v8, v12
	v_pk_add_f32 v[2:3], v[2:3], v[12:13] neg_lo:[0,1] neg_hi:[0,1]
	v_sub_f32_e32 v5, v6, v5
	v_add_f32_e32 v2, v2, v5
	v_add_f32_e32 v2, v2, v3
	;; [unrolled: 1-line block ×3, first 2 shown]
	v_sub_f32_e32 v4, v3, v4
	v_sub_f32_e32 v2, v2, v4
	v_mul_f32_e32 v4, v21, v3
	v_fma_f32 v3, v21, v3, -v4
	v_fmac_f32_e32 v3, v21, v2
	v_add_f32_e32 v2, v4, v3
	v_cmp_class_f32_e64 s[0:1], v4, s7
	v_sub_f32_e32 v5, v2, v4
	v_cndmask_b32_e64 v2, v2, v4, s[0:1]
	v_cmp_eq_f32_e64 s[0:1], s9, v2
	v_cndmask_b32_e64 v4, 0, v25, s[0:1]
	v_sub_f32_e32 v3, v3, v5
	v_sub_f32_e32 v5, v2, v4
	v_mul_f32_e32 v6, 0x3fb8aa3b, v5
	v_fma_f32 v7, v5, s12, -v6
	v_rndne_f32_e32 v8, v6
	v_fmac_f32_e32 v7, 0x32a5705f, v5
	v_sub_f32_e32 v6, v6, v8
	v_add_f32_e32 v6, v6, v7
	v_exp_f32_e32 v6, v6
	v_cvt_i32_f32_e32 v7, v8
	v_cmp_neq_f32_e64 s[0:1], |v2|, s6
	v_cndmask_b32_e64 v2, 0, v3, s[0:1]
	v_cmp_ngt_f32_e64 s[0:1], s13, v5
	v_ldexp_f32 v3, v6, v7
	v_cndmask_b32_e64 v3, 0, v3, s[0:1]
	v_cmp_nlt_f32_e64 s[0:1], s9, v5
	v_add_f32_e32 v2, v4, v2
	v_cndmask_b32_e64 v3, v26, v3, s[0:1]
	v_fma_f32 v2, v3, v2, v3
	v_cmp_class_f32_e64 s[0:1], v3, s7
	v_trunc_f32_e32 v4, v21
	v_cndmask_b32_e64 v2, v2, v3, s[0:1]
	v_cndmask_b32_e64 v3, v18, 1.0, vcc
	v_cmp_eq_f32_e32 vcc, v4, v21
	v_mul_f32_e32 v4, 0.5, v21
	v_trunc_f32_e32 v5, v4
	v_cmp_neq_f32_e64 s[0:1], v5, v4
	s_and_b64 s[0:1], vcc, s[0:1]
	v_cndmask_b32_e64 v4, 1.0, v3, s[0:1]
	v_bfi_b32 v2, s14, v2, v4
	v_cmp_eq_f32_e64 s[2:3], 0, v3
	v_cmp_gt_f32_e64 s[4:5], 0, v21
	v_cndmask_b32_e32 v4, v28, v2, vcc
	v_cmp_gt_f32_e32 vcc, 0, v3
	s_xor_b64 s[4:5], s[4:5], s[2:3]
	v_cndmask_b32_e32 v2, v2, v4, vcc
	v_cmp_eq_f32_e32 vcc, s6, v29
	v_cndmask_b32_e64 v4, v26, 0, s[4:5]
	v_cndmask_b32_e64 v5, 0, v3, s[0:1]
	v_bfi_b32 v4, s14, v4, v5
	s_or_b64 vcc, vcc, s[2:3]
	v_cndmask_b32_e32 v2, v2, v4, vcc
	v_sub_f32_e32 v2, 1.0, v2
	v_div_scale_f32 v4, s[0:1], v2, v2, 1.0
	v_rcp_f32_e32 v5, v4
	v_div_fixup_f32 v6, v23, v22, 1.0
	v_cmp_o_f32_e32 vcc, v27, v27
	v_cndmask_b32_e32 v22, v28, v6, vcc
	v_fma_f32 v6, -v4, v5, 1.0
	v_fmac_f32_e32 v5, v6, v5
	v_div_scale_f32 v6, vcc, 1.0, v2, 1.0
	v_mul_f32_e32 v7, v6, v5
	v_fma_f32 v8, -v4, v7, v6
	v_fmac_f32_e32 v7, v8, v5
	v_fma_f32 v4, -v4, v7, v6
	v_div_fmas_f32 v4, v4, v5, v7
	v_div_fixup_f32 v2, v4, v2, 1.0
	v_cmp_o_f32_e32 vcc, v3, v3
	v_sub_f32_e64 v19, 1.0, s60
	v_sub_f32_e64 v20, 1.0, s61
	v_cndmask_b32_e32 v24, v28, v2, vcc
	v_mov_b32_e32 v1, 0
	s_mov_b32 s36, 0
	v_mov_b32_e32 v23, v22
	v_mov_b32_e32 v25, v24
	s_mov_b32 s63, s62
	v_mov_b32_e32 v26, v19
	v_mov_b32_e32 v27, v19
	s_mov_b32 s68, s64
	s_mov_b32 s69, s64
	;; [unrolled: 1-line block ×4, first 2 shown]
	v_mov_b32_e32 v28, v20
	v_mov_b32_e32 v29, v20
	s_mov_b32 s72, s61
	s_mov_b32 s73, s61
	s_sub_i32 s65, s65, s8
	v_mov_b32_e32 v30, s8
	v_mov_b32_e32 v106, 0xff7fffff
	;; [unrolled: 1-line block ×3, first 2 shown]
	s_mov_b32 s74, 0xf800000
	v_mov_b32_e32 v109, 0x260
	v_mov_b32_e32 v110, 2
	v_mov_b32_e32 v107, 0
	v_mov_b32_e32 v108, 0xff7fffff
	s_branch .LBB91_8
.LBB91_7:                               ;   in Loop: Header=BB91_8 Depth=1
	v_max3_f32 v17, v108, |v33|, |v17|
	v_max3_f32 v16, v106, |v32|, |v16|
	;; [unrolled: 1-line block ×14, first 2 shown]
	v_add_co_u32_e32 v30, vcc, s33, v30
	v_max3_f32 v106, v3, |v46|, |v6|
	v_max3_f32 v108, v2, |v47|, |v7|
	s_andn2_b64 vcc, exec, vcc
	s_sub_i32 s65, s65, s33
	s_cbranch_vccnz .LBB91_106
.LBB91_8:                               ; =>This Inner Loop Header: Depth=1
	v_lshlrev_b64 v[2:3], 2, v[30:31]
	v_add_co_u32_e32 v32, vcc, v50, v2
	s_mov_b32 s37, s36
	s_min_u32 s61, s65, 0x1000
	v_addc_co_u32_e32 v33, vcc, v51, v3, vcc
	s_mov_b32 s38, s36
	s_mov_b32 s39, s36
	;; [unrolled: 1-line block ×14, first 2 shown]
	v_pk_mov_b32 v[2:3], s[36:37], s[36:37] op_sel:[0,1]
	v_cmp_gt_u32_e64 s[28:29], s61, v52
	v_pk_mov_b32 v[4:5], s[38:39], s[38:39] op_sel:[0,1]
	v_pk_mov_b32 v[6:7], s[40:41], s[40:41] op_sel:[0,1]
	;; [unrolled: 1-line block ×7, first 2 shown]
	v_mov_b32_e32 v21, 0
	s_and_saveexec_b64 s[0:1], s[28:29]
	s_cbranch_execnz .LBB91_61
; %bb.9:                                ;   in Loop: Header=BB91_8 Depth=1
	s_or_b64 exec, exec, s[0:1]
	v_cmp_gt_u32_e64 s[26:27], s61, v53
	s_and_saveexec_b64 s[0:1], s[26:27]
	s_cbranch_execnz .LBB91_62
.LBB91_10:                              ;   in Loop: Header=BB91_8 Depth=1
	s_or_b64 exec, exec, s[0:1]
	v_cmp_gt_u32_e64 s[24:25], s61, v54
	s_and_saveexec_b64 s[0:1], s[24:25]
	s_cbranch_execnz .LBB91_63
.LBB91_11:                              ;   in Loop: Header=BB91_8 Depth=1
	s_or_b64 exec, exec, s[0:1]
	v_cmp_gt_u32_e64 s[22:23], s61, v55
	s_and_saveexec_b64 s[0:1], s[22:23]
	s_cbranch_execnz .LBB91_64
.LBB91_12:                              ;   in Loop: Header=BB91_8 Depth=1
	s_or_b64 exec, exec, s[0:1]
	v_cmp_gt_u32_e64 s[20:21], s61, v56
	s_and_saveexec_b64 s[0:1], s[20:21]
	s_cbranch_execnz .LBB91_65
.LBB91_13:                              ;   in Loop: Header=BB91_8 Depth=1
	s_or_b64 exec, exec, s[0:1]
	v_cmp_gt_u32_e64 s[18:19], s61, v57
	s_and_saveexec_b64 s[0:1], s[18:19]
	s_cbranch_execnz .LBB91_66
.LBB91_14:                              ;   in Loop: Header=BB91_8 Depth=1
	s_or_b64 exec, exec, s[0:1]
	v_cmp_gt_u32_e64 s[16:17], s61, v58
	s_and_saveexec_b64 s[0:1], s[16:17]
	s_cbranch_execnz .LBB91_67
.LBB91_15:                              ;   in Loop: Header=BB91_8 Depth=1
	s_or_b64 exec, exec, s[0:1]
	v_cmp_gt_u32_e64 s[14:15], s61, v59
	s_and_saveexec_b64 s[0:1], s[14:15]
	s_cbranch_execnz .LBB91_68
.LBB91_16:                              ;   in Loop: Header=BB91_8 Depth=1
	s_or_b64 exec, exec, s[0:1]
	v_cmp_gt_u32_e64 s[12:13], s61, v60
	s_and_saveexec_b64 s[0:1], s[12:13]
	s_cbranch_execnz .LBB91_69
.LBB91_17:                              ;   in Loop: Header=BB91_8 Depth=1
	s_or_b64 exec, exec, s[0:1]
	v_cmp_gt_u32_e64 s[10:11], s61, v61
	s_and_saveexec_b64 s[0:1], s[10:11]
	s_cbranch_execnz .LBB91_70
.LBB91_18:                              ;   in Loop: Header=BB91_8 Depth=1
	s_or_b64 exec, exec, s[0:1]
	v_cmp_gt_u32_e64 s[8:9], s61, v62
	s_and_saveexec_b64 s[0:1], s[8:9]
	s_cbranch_execnz .LBB91_71
.LBB91_19:                              ;   in Loop: Header=BB91_8 Depth=1
	s_or_b64 exec, exec, s[0:1]
	v_cmp_gt_u32_e64 s[6:7], s61, v63
	s_and_saveexec_b64 s[0:1], s[6:7]
	s_cbranch_execnz .LBB91_72
.LBB91_20:                              ;   in Loop: Header=BB91_8 Depth=1
	s_or_b64 exec, exec, s[0:1]
	v_cmp_gt_u32_e64 s[4:5], s61, v64
	s_and_saveexec_b64 s[0:1], s[4:5]
	s_cbranch_execnz .LBB91_73
.LBB91_21:                              ;   in Loop: Header=BB91_8 Depth=1
	s_or_b64 exec, exec, s[0:1]
	v_cmp_gt_u32_e64 s[2:3], s61, v65
	s_and_saveexec_b64 s[0:1], s[2:3]
	s_cbranch_execnz .LBB91_74
.LBB91_22:                              ;   in Loop: Header=BB91_8 Depth=1
	s_or_b64 exec, exec, s[0:1]
	v_cmp_gt_u32_e64 s[0:1], s61, v66
	s_and_saveexec_b64 s[30:31], s[0:1]
	s_cbranch_execnz .LBB91_75
.LBB91_23:                              ;   in Loop: Header=BB91_8 Depth=1
	s_or_b64 exec, exec, s[30:31]
	v_cmp_gt_u32_e32 vcc, s61, v67
	s_and_saveexec_b64 s[30:31], vcc
	s_cbranch_execz .LBB91_25
.LBB91_24:                              ;   in Loop: Header=BB91_8 Depth=1
	global_load_dword v17, v[32:33], off offset:3840
.LBB91_25:                              ;   in Loop: Header=BB91_8 Depth=1
	s_or_b64 exec, exec, s[30:31]
	s_waitcnt vmcnt(0)
	ds_write_b32 v68, v21
	ds_write_b32 v69, v3
	;; [unrolled: 1-line block ×16, first 2 shown]
	; wave barrier
	ds_read2_b32 v[16:17], v84 offset1:1
	ds_read2_b32 v[14:15], v84 offset0:2 offset1:3
	ds_read2_b32 v[34:35], v84 offset0:4 offset1:5
	;; [unrolled: 1-line block ×7, first 2 shown]
	v_add_co_u32_e64 v2, s[30:31], v85, v30
	v_addc_co_u32_e64 v3, s[30:31], 0, v86, s[30:31]
	v_mov_b32_e32 v4, 0x80
	v_mov_b32_e32 v5, 0x80
	;; [unrolled: 1-line block ×15, first 2 shown]
	s_waitcnt lgkmcnt(0)
	s_barrier
	s_and_saveexec_b64 s[30:31], s[28:29]
	s_cbranch_execnz .LBB91_76
; %bb.26:                               ;   in Loop: Header=BB91_8 Depth=1
	s_or_b64 exec, exec, s[30:31]
	v_mov_b32_e32 v111, v4
	s_and_saveexec_b64 s[30:31], s[26:27]
	s_cbranch_execnz .LBB91_77
.LBB91_27:                              ;   in Loop: Header=BB91_8 Depth=1
	s_or_b64 exec, exec, s[30:31]
	s_and_saveexec_b64 s[30:31], s[24:25]
	s_cbranch_execnz .LBB91_78
.LBB91_28:                              ;   in Loop: Header=BB91_8 Depth=1
	s_or_b64 exec, exec, s[30:31]
	s_and_saveexec_b64 s[30:31], s[22:23]
	s_cbranch_execnz .LBB91_79
.LBB91_29:                              ;   in Loop: Header=BB91_8 Depth=1
	s_or_b64 exec, exec, s[30:31]
	s_and_saveexec_b64 s[30:31], s[20:21]
	s_cbranch_execnz .LBB91_80
.LBB91_30:                              ;   in Loop: Header=BB91_8 Depth=1
	s_or_b64 exec, exec, s[30:31]
	s_and_saveexec_b64 s[30:31], s[18:19]
	s_cbranch_execnz .LBB91_81
.LBB91_31:                              ;   in Loop: Header=BB91_8 Depth=1
	s_or_b64 exec, exec, s[30:31]
	s_and_saveexec_b64 s[30:31], s[16:17]
	s_cbranch_execnz .LBB91_82
.LBB91_32:                              ;   in Loop: Header=BB91_8 Depth=1
	s_or_b64 exec, exec, s[30:31]
	s_and_saveexec_b64 s[30:31], s[14:15]
	s_cbranch_execnz .LBB91_83
.LBB91_33:                              ;   in Loop: Header=BB91_8 Depth=1
	s_or_b64 exec, exec, s[30:31]
	s_and_saveexec_b64 s[30:31], s[12:13]
	s_cbranch_execnz .LBB91_84
.LBB91_34:                              ;   in Loop: Header=BB91_8 Depth=1
	s_or_b64 exec, exec, s[30:31]
	s_and_saveexec_b64 s[30:31], s[10:11]
	s_cbranch_execnz .LBB91_85
.LBB91_35:                              ;   in Loop: Header=BB91_8 Depth=1
	s_or_b64 exec, exec, s[30:31]
	s_and_saveexec_b64 s[30:31], s[8:9]
	s_cbranch_execnz .LBB91_86
.LBB91_36:                              ;   in Loop: Header=BB91_8 Depth=1
	s_or_b64 exec, exec, s[30:31]
	s_and_saveexec_b64 s[30:31], s[6:7]
	s_cbranch_execnz .LBB91_87
.LBB91_37:                              ;   in Loop: Header=BB91_8 Depth=1
	s_or_b64 exec, exec, s[30:31]
	s_and_saveexec_b64 s[30:31], s[4:5]
	s_cbranch_execnz .LBB91_88
.LBB91_38:                              ;   in Loop: Header=BB91_8 Depth=1
	s_or_b64 exec, exec, s[30:31]
	s_and_saveexec_b64 s[30:31], s[2:3]
	s_cbranch_execnz .LBB91_89
.LBB91_39:                              ;   in Loop: Header=BB91_8 Depth=1
	s_or_b64 exec, exec, s[30:31]
	s_and_saveexec_b64 s[30:31], s[0:1]
	s_cbranch_execnz .LBB91_90
.LBB91_40:                              ;   in Loop: Header=BB91_8 Depth=1
	s_or_b64 exec, exec, s[30:31]
	s_and_saveexec_b64 s[30:31], vcc
	s_cbranch_execz .LBB91_42
.LBB91_41:                              ;   in Loop: Header=BB91_8 Depth=1
	global_load_ubyte v47, v[2:3], off offset:960
.LBB91_42:                              ;   in Loop: Header=BB91_8 Depth=1
	s_or_b64 exec, exec, s[30:31]
	s_waitcnt vmcnt(0)
	ds_write_b8 v87, v5
	ds_write_b8 v88, v111
	;; [unrolled: 1-line block ×16, first 2 shown]
	; wave barrier
	ds_read_b128 v[2:5], v103
	v_add_co_u32_e64 v36, s[30:31], v104, v30
	v_addc_co_u32_e64 v37, s[30:31], 0, v105, s[30:31]
	v_mov_b32_e32 v21, 0x80
	v_mov_b32_e32 v38, 0x80
	;; [unrolled: 1-line block ×15, first 2 shown]
	s_waitcnt lgkmcnt(0)
	s_barrier
	s_and_saveexec_b64 s[30:31], s[28:29]
	s_cbranch_execnz .LBB91_91
; %bb.43:                               ;   in Loop: Header=BB91_8 Depth=1
	s_or_b64 exec, exec, s[30:31]
	v_mov_b32_e32 v115, v21
	s_and_saveexec_b64 s[28:29], s[26:27]
	s_cbranch_execnz .LBB91_92
.LBB91_44:                              ;   in Loop: Header=BB91_8 Depth=1
	s_or_b64 exec, exec, s[28:29]
	s_and_saveexec_b64 s[26:27], s[24:25]
	s_cbranch_execnz .LBB91_93
.LBB91_45:                              ;   in Loop: Header=BB91_8 Depth=1
	s_or_b64 exec, exec, s[26:27]
	s_and_saveexec_b64 s[24:25], s[22:23]
	s_cbranch_execnz .LBB91_94
.LBB91_46:                              ;   in Loop: Header=BB91_8 Depth=1
	s_or_b64 exec, exec, s[24:25]
	s_and_saveexec_b64 s[22:23], s[20:21]
	s_cbranch_execnz .LBB91_95
.LBB91_47:                              ;   in Loop: Header=BB91_8 Depth=1
	s_or_b64 exec, exec, s[22:23]
	s_and_saveexec_b64 s[20:21], s[18:19]
	s_cbranch_execnz .LBB91_96
.LBB91_48:                              ;   in Loop: Header=BB91_8 Depth=1
	s_or_b64 exec, exec, s[20:21]
	s_and_saveexec_b64 s[18:19], s[16:17]
	s_cbranch_execnz .LBB91_97
.LBB91_49:                              ;   in Loop: Header=BB91_8 Depth=1
	s_or_b64 exec, exec, s[18:19]
	s_and_saveexec_b64 s[16:17], s[14:15]
	s_cbranch_execnz .LBB91_98
.LBB91_50:                              ;   in Loop: Header=BB91_8 Depth=1
	s_or_b64 exec, exec, s[16:17]
	s_and_saveexec_b64 s[14:15], s[12:13]
	s_cbranch_execnz .LBB91_99
.LBB91_51:                              ;   in Loop: Header=BB91_8 Depth=1
	s_or_b64 exec, exec, s[14:15]
	s_and_saveexec_b64 s[12:13], s[10:11]
	s_cbranch_execnz .LBB91_100
.LBB91_52:                              ;   in Loop: Header=BB91_8 Depth=1
	s_or_b64 exec, exec, s[12:13]
	s_and_saveexec_b64 s[10:11], s[8:9]
	s_cbranch_execnz .LBB91_101
.LBB91_53:                              ;   in Loop: Header=BB91_8 Depth=1
	s_or_b64 exec, exec, s[10:11]
	s_and_saveexec_b64 s[8:9], s[6:7]
	s_cbranch_execnz .LBB91_102
.LBB91_54:                              ;   in Loop: Header=BB91_8 Depth=1
	s_or_b64 exec, exec, s[8:9]
	s_and_saveexec_b64 s[6:7], s[4:5]
	s_cbranch_execnz .LBB91_103
.LBB91_55:                              ;   in Loop: Header=BB91_8 Depth=1
	s_or_b64 exec, exec, s[6:7]
	s_and_saveexec_b64 s[4:5], s[2:3]
	s_cbranch_execnz .LBB91_104
.LBB91_56:                              ;   in Loop: Header=BB91_8 Depth=1
	s_or_b64 exec, exec, s[4:5]
	s_and_saveexec_b64 s[2:3], s[0:1]
	s_cbranch_execnz .LBB91_105
.LBB91_57:                              ;   in Loop: Header=BB91_8 Depth=1
	s_or_b64 exec, exec, s[2:3]
	s_and_saveexec_b64 s[0:1], vcc
	s_cbranch_execz .LBB91_59
.LBB91_58:                              ;   in Loop: Header=BB91_8 Depth=1
	global_load_ubyte v114, v[36:37], off offset:960
.LBB91_59:                              ;   in Loop: Header=BB91_8 Depth=1
	s_or_b64 exec, exec, s[0:1]
	s_waitcnt vmcnt(0)
	ds_write_b8 v87, v38
	ds_write_b8 v88, v115
	;; [unrolled: 1-line block ×16, first 2 shown]
	; wave barrier
	ds_read_b128 v[36:39], v103
	v_lshlrev_b32_sdwa v21, v110, v2 dst_sel:DWORD dst_unused:UNUSED_PAD src0_sel:DWORD src1_sel:BYTE_0
	v_lshlrev_b32_sdwa v40, v110, v2 dst_sel:DWORD dst_unused:UNUSED_PAD src0_sel:DWORD src1_sel:BYTE_1
	v_lshlrev_b32_sdwa v41, v110, v2 dst_sel:DWORD dst_unused:UNUSED_PAD src0_sel:DWORD src1_sel:BYTE_2
	v_lshlrev_b32_sdwa v2, v110, v2 dst_sel:DWORD dst_unused:UNUSED_PAD src0_sel:DWORD src1_sel:BYTE_3
	v_lshlrev_b32_sdwa v42, v110, v3 dst_sel:DWORD dst_unused:UNUSED_PAD src0_sel:DWORD src1_sel:BYTE_0
	v_lshlrev_b32_sdwa v43, v110, v3 dst_sel:DWORD dst_unused:UNUSED_PAD src0_sel:DWORD src1_sel:BYTE_1
	v_lshlrev_b32_sdwa v44, v110, v3 dst_sel:DWORD dst_unused:UNUSED_PAD src0_sel:DWORD src1_sel:BYTE_2
	v_lshlrev_b32_sdwa v45, v110, v3 dst_sel:DWORD dst_unused:UNUSED_PAD src0_sel:DWORD src1_sel:BYTE_3
	s_waitcnt lgkmcnt(0)
	s_barrier
	s_load_dword s2, s[52:53], 0x0
	ds_read_b32 v111, v21 offset:16896
	ds_read_b32 v119, v40 offset:16896
	;; [unrolled: 1-line block ×8, first 2 shown]
	v_lshlrev_b32_sdwa v40, v110, v4 dst_sel:DWORD dst_unused:UNUSED_PAD src0_sel:DWORD src1_sel:BYTE_0
	v_lshlrev_b32_sdwa v42, v110, v4 dst_sel:DWORD dst_unused:UNUSED_PAD src0_sel:DWORD src1_sel:BYTE_1
	v_lshlrev_b32_sdwa v43, v110, v4 dst_sel:DWORD dst_unused:UNUSED_PAD src0_sel:DWORD src1_sel:BYTE_2
	v_lshlrev_b32_sdwa v4, v110, v4 dst_sel:DWORD dst_unused:UNUSED_PAD src0_sel:DWORD src1_sel:BYTE_3
	v_lshlrev_b32_sdwa v44, v110, v5 dst_sel:DWORD dst_unused:UNUSED_PAD src0_sel:DWORD src1_sel:BYTE_0
	v_lshlrev_b32_sdwa v45, v110, v5 dst_sel:DWORD dst_unused:UNUSED_PAD src0_sel:DWORD src1_sel:BYTE_1
	v_lshlrev_b32_sdwa v46, v110, v5 dst_sel:DWORD dst_unused:UNUSED_PAD src0_sel:DWORD src1_sel:BYTE_2
	v_lshlrev_b32_sdwa v5, v110, v5 dst_sel:DWORD dst_unused:UNUSED_PAD src0_sel:DWORD src1_sel:BYTE_3
	ds_read_b32 v125, v40 offset:16896
	ds_read_b32 v127, v42 offset:16896
	;; [unrolled: 1-line block ×8, first 2 shown]
	v_lshlrev_b32_sdwa v4, v110, v36 dst_sel:DWORD dst_unused:UNUSED_PAD src0_sel:DWORD src1_sel:BYTE_0
	v_lshlrev_b32_sdwa v5, v110, v36 dst_sel:DWORD dst_unused:UNUSED_PAD src0_sel:DWORD src1_sel:BYTE_1
	v_lshlrev_b32_sdwa v42, v110, v36 dst_sel:DWORD dst_unused:UNUSED_PAD src0_sel:DWORD src1_sel:BYTE_2
	s_load_dword s0, s[54:55], 0x0
	v_lshlrev_b32_sdwa v43, v110, v36 dst_sel:DWORD dst_unused:UNUSED_PAD src0_sel:DWORD src1_sel:BYTE_3
	v_lshlrev_b32_sdwa v45, v110, v37 dst_sel:DWORD dst_unused:UNUSED_PAD src0_sel:DWORD src1_sel:BYTE_0
	v_lshlrev_b32_sdwa v46, v110, v37 dst_sel:DWORD dst_unused:UNUSED_PAD src0_sel:DWORD src1_sel:BYTE_1
	ds_read_b32 v36, v4 offset:17920
	ds_read_b32 v40, v5 offset:17920
	;; [unrolled: 1-line block ×6, first 2 shown]
	v_lshlrev_b32_sdwa v112, v110, v37 dst_sel:DWORD dst_unused:UNUSED_PAD src0_sel:DWORD src1_sel:BYTE_2
	v_mov_b32_e32 v47, v32
	v_lshlrev_b32_sdwa v32, v110, v37 dst_sel:DWORD dst_unused:UNUSED_PAD src0_sel:DWORD src1_sel:BYTE_3
	ds_read_b32 v46, v112 offset:17920
	ds_read_b32 v32, v32 offset:17920
	v_pk_mul_f32 v[34:35], v[34:35], s[68:69]
	s_waitcnt lgkmcnt(0)
	v_pk_mul_f32 v[2:3], v[2:3], s[2:3] op_sel_hi:[1,0]
	v_pk_mul_f32 v[4:5], v[4:5], s[0:1] op_sel_hi:[1,0]
	v_pk_mul_f32 v[2:3], v[2:3], s[70:71]
	v_pk_mul_f32 v[4:5], v[4:5], s[72:73]
	;; [unrolled: 1-line block ×3, first 2 shown]
	s_mov_b32 s1, s64
	v_pk_fma_f32 v[2:3], v[26:27], v[34:35], v[2:3]
	v_pk_fma_f32 v[4:5], v[34:35], v[112:113], v[4:5]
	v_pk_mul_f32 v[34:35], v[46:47], s[0:1]
	v_mov_b32_e32 v112, v35
	v_mov_b32_e32 v113, s2
	v_pk_mul_f32 v[46:47], v[20:21], v[112:113]
	v_mov_b32_e32 v115, s60
	v_mov_b32_e32 v114, v35
	v_pk_mul_f32 v[46:47], v[46:47], v[114:115]
	v_pk_fma_f32 v[34:35], v[18:19], v[34:35], v[46:47]
	v_pk_mul_f32 v[46:47], v[32:33], s[0:1]
	v_mov_b32_e32 v21, v41
	v_mov_b32_e32 v112, v47
	v_pk_mul_f32 v[32:33], v[20:21], v[112:113]
	v_mov_b32_e32 v114, v47
	v_pk_mul_f32 v[116:117], v[32:33], v[114:115]
	v_lshlrev_b32_sdwa v21, v110, v38 dst_sel:DWORD dst_unused:UNUSED_PAD src0_sel:DWORD src1_sel:BYTE_0
	v_mov_b32_e32 v33, v12
	v_lshlrev_b32_sdwa v12, v110, v38 dst_sel:DWORD dst_unused:UNUSED_PAD src0_sel:DWORD src1_sel:BYTE_1
	v_lshlrev_b32_sdwa v37, v110, v38 dst_sel:DWORD dst_unused:UNUSED_PAD src0_sel:DWORD src1_sel:BYTE_2
	v_lshlrev_b32_sdwa v38, v110, v38 dst_sel:DWORD dst_unused:UNUSED_PAD src0_sel:DWORD src1_sel:BYTE_3
	v_lshlrev_b32_sdwa v41, v110, v39 dst_sel:DWORD dst_unused:UNUSED_PAD src0_sel:DWORD src1_sel:BYTE_0
	v_lshlrev_b32_sdwa v43, v110, v39 dst_sel:DWORD dst_unused:UNUSED_PAD src0_sel:DWORD src1_sel:BYTE_1
	v_lshlrev_b32_sdwa v45, v110, v39 dst_sel:DWORD dst_unused:UNUSED_PAD src0_sel:DWORD src1_sel:BYTE_2
	v_lshlrev_b32_sdwa v39, v110, v39 dst_sel:DWORD dst_unused:UNUSED_PAD src0_sel:DWORD src1_sel:BYTE_3
	ds_read_b32 v32, v21 offset:17920
	ds_read_b32 v12, v12 offset:17920
	;; [unrolled: 1-line block ×8, first 2 shown]
	s_waitcnt lgkmcnt(7)
	v_pk_mul_f32 v[38:39], v[32:33], s[0:1]
	v_mov_b32_e32 v37, v16
	v_mov_b32_e32 v21, v125
	;; [unrolled: 1-line block ×3, first 2 shown]
	v_pk_mul_f32 v[32:33], v[36:37], s[0:1]
	v_pk_mul_f32 v[130:131], v[20:21], v[112:113]
	v_mov_b32_e32 v21, v111
	v_mov_b32_e32 v36, v33
	;; [unrolled: 1-line block ×3, first 2 shown]
	v_pk_mul_f32 v[132:133], v[20:21], v[36:37]
	v_mov_b32_e32 v37, s60
	v_mov_b32_e32 v41, v17
	v_pk_mul_f32 v[36:37], v[132:133], v[36:37]
	v_pk_mul_f32 v[16:17], v[40:41], s[0:1]
	v_pk_fma_f32 v[32:33], v[18:19], v[32:33], v[36:37]
	v_mov_b32_e32 v21, v119
	v_mov_b32_e32 v36, v17
	;; [unrolled: 1-line block ×3, first 2 shown]
	v_pk_mul_f32 v[36:37], v[20:21], v[36:37]
	v_mov_b32_e32 v114, v17
	v_pk_mul_f32 v[36:37], v[36:37], v[114:115]
	v_mov_b32_e32 v43, v14
	v_pk_fma_f32 v[16:17], v[18:19], v[16:17], v[36:37]
	v_pk_mul_f32 v[36:37], v[42:43], s[0:1]
	v_mov_b32_e32 v21, v121
	v_mov_b32_e32 v40, v37
	;; [unrolled: 1-line block ×3, first 2 shown]
	v_pk_mul_f32 v[40:41], v[20:21], v[40:41]
	v_mov_b32_e32 v114, v37
	v_mov_b32_e32 v45, v15
	v_pk_mul_f32 v[40:41], v[40:41], v[114:115]
	v_pk_mul_f32 v[14:15], v[44:45], s[0:1]
	v_pk_fma_f32 v[36:37], v[18:19], v[36:37], v[40:41]
	v_mov_b32_e32 v21, v123
	v_mov_b32_e32 v40, v15
	;; [unrolled: 1-line block ×3, first 2 shown]
	v_pk_mul_f32 v[40:41], v[20:21], v[40:41]
	v_mov_b32_e32 v114, v15
	v_pk_mul_f32 v[40:41], v[40:41], v[114:115]
	v_mov_b32_e32 v114, v39
	s_waitcnt lgkmcnt(6)
	v_pk_mul_f32 v[12:13], v[12:13], s[0:1]
	v_pk_mul_f32 v[42:43], v[130:131], v[114:115]
	v_mov_b32_e32 v21, v127
	v_mov_b32_e32 v112, v13
	v_pk_fma_f32 v[38:39], v[18:19], v[38:39], v[42:43]
	v_pk_mul_f32 v[42:43], v[20:21], v[112:113]
	v_mov_b32_e32 v114, v13
	v_pk_mul_f32 v[42:43], v[42:43], v[114:115]
	v_mov_b32_e32 v119, v10
	v_pk_fma_f32 v[12:13], v[18:19], v[12:13], v[42:43]
	s_waitcnt lgkmcnt(5)
	v_pk_mul_f32 v[42:43], v[118:119], s[0:1]
	v_mov_b32_e32 v21, v129
	v_mov_b32_e32 v112, v43
	;; [unrolled: 1-line block ×3, first 2 shown]
	v_pk_mul_f32 v[44:45], v[20:21], v[112:113]
	v_mov_b32_e32 v114, v43
	s_waitcnt lgkmcnt(4)
	v_pk_mul_f32 v[10:11], v[120:121], s[0:1]
	v_pk_mul_f32 v[44:45], v[44:45], v[114:115]
	v_mov_b32_e32 v21, v134
	v_mov_b32_e32 v112, v11
	v_pk_fma_f32 v[42:43], v[18:19], v[42:43], v[44:45]
	v_pk_mul_f32 v[44:45], v[20:21], v[112:113]
	v_mov_b32_e32 v114, v11
	v_pk_mul_f32 v[44:45], v[44:45], v[114:115]
	v_mov_b32_e32 v123, v8
	v_pk_fma_f32 v[10:11], v[18:19], v[10:11], v[44:45]
	s_waitcnt lgkmcnt(3)
	v_pk_mul_f32 v[44:45], v[122:123], s[0:1]
	v_mov_b32_e32 v21, v135
	v_mov_b32_e32 v112, v45
	;; [unrolled: 1-line block ×3, first 2 shown]
	v_pk_fma_f32 v[40:41], v[18:19], v[14:15], v[40:41]
	v_pk_fma_f32 v[14:15], v[18:19], v[46:47], v[116:117]
	v_pk_mul_f32 v[46:47], v[20:21], v[112:113]
	v_mov_b32_e32 v114, v45
	s_waitcnt lgkmcnt(2)
	v_pk_mul_f32 v[8:9], v[124:125], s[0:1]
	v_pk_mul_f32 v[46:47], v[46:47], v[114:115]
	v_mov_b32_e32 v21, v136
	v_mov_b32_e32 v112, v9
	v_pk_fma_f32 v[44:45], v[18:19], v[44:45], v[46:47]
	v_pk_mul_f32 v[46:47], v[20:21], v[112:113]
	v_mov_b32_e32 v114, v9
	v_pk_mul_f32 v[46:47], v[46:47], v[114:115]
	v_mov_b32_e32 v127, v6
	v_pk_fma_f32 v[8:9], v[18:19], v[8:9], v[46:47]
	s_waitcnt lgkmcnt(1)
	v_pk_mul_f32 v[46:47], v[126:127], s[0:1]
	v_mov_b32_e32 v129, v7
	v_mov_b32_e32 v21, v137
	;; [unrolled: 1-line block ×3, first 2 shown]
	s_waitcnt lgkmcnt(0)
	v_pk_mul_f32 v[6:7], v[128:129], s[0:1]
	v_pk_mul_f32 v[116:117], v[20:21], v[112:113]
	v_mov_b32_e32 v114, v47
	v_mov_b32_e32 v21, v138
	;; [unrolled: 1-line block ×3, first 2 shown]
	v_pk_mul_f32 v[116:117], v[116:117], v[114:115]
	v_pk_mul_f32 v[112:113], v[20:21], v[112:113]
	v_mov_b32_e32 v114, v7
	v_pk_mul_f32 v[112:113], v[112:113], v[114:115]
	v_pk_fma_f32 v[46:47], v[18:19], v[46:47], v[116:117]
	s_andn2_b64 vcc, exec, s[66:67]
	v_pk_fma_f32 v[6:7], v[18:19], v[6:7], v[112:113]
	s_cbranch_vccnz .LBB91_7
; %bb.60:                               ;   in Loop: Header=BB91_8 Depth=1
	v_mul_f32_e32 v21, v24, v32
	v_mul_f32_e32 v111, 0x4f800000, v21
	v_cmp_gt_f32_e32 vcc, s74, v21
	v_cndmask_b32_e32 v21, v21, v111, vcc
	v_sqrt_f32_e32 v111, v21
	v_mul_f32_e32 v112, v22, v33
	v_mul_f32_e32 v117, v24, v16
	;; [unrolled: 1-line block ×3, first 2 shown]
	v_add_u32_e32 v113, -1, v111
	v_fma_f32 v114, -v113, v111, v21
	v_cmp_ge_f32_e64 s[0:1], 0, v114
	v_add_u32_e32 v114, 1, v111
	v_cndmask_b32_e64 v113, v111, v113, s[0:1]
	v_fma_f32 v111, -v114, v111, v21
	v_cmp_lt_f32_e64 s[0:1], 0, v111
	v_cndmask_b32_e64 v111, v113, v114, s[0:1]
	v_mul_f32_e32 v113, 0x37800000, v111
	v_cndmask_b32_e32 v111, v111, v113, vcc
	v_cmp_class_f32_e32 vcc, v21, v109
	v_cndmask_b32_e32 v21, v111, v21, vcc
	v_add_f32_e32 v21, s62, v21
	v_div_scale_f32 v111, s[0:1], v21, v21, v112
	v_rcp_f32_e32 v113, v111
	v_cmp_gt_f32_e64 s[0:1], s74, v117
	v_cndmask_b32_e64 v117, v117, v118, s[0:1]
	v_sqrt_f32_e32 v118, v117
	v_fma_f32 v114, -v111, v113, 1.0
	v_fmac_f32_e32 v113, v114, v113
	v_div_scale_f32 v114, vcc, v112, v21, v112
	v_mul_f32_e32 v115, v114, v113
	v_fma_f32 v116, -v111, v115, v114
	v_fmac_f32_e32 v115, v116, v113
	v_add_u32_e32 v116, -1, v118
	v_fma_f32 v119, -v116, v118, v117
	v_cmp_ge_f32_e64 s[2:3], 0, v119
	v_add_u32_e32 v119, 1, v118
	v_cndmask_b32_e64 v116, v118, v116, s[2:3]
	v_fma_f32 v118, -v119, v118, v117
	v_cmp_lt_f32_e64 s[2:3], 0, v118
	v_cndmask_b32_e64 v116, v116, v119, s[2:3]
	v_mul_f32_e32 v118, 0x37800000, v116
	v_cndmask_b32_e64 v116, v116, v118, s[0:1]
	v_cmp_class_f32_e64 s[0:1], v117, v109
	v_cndmask_b32_e64 v116, v116, v117, s[0:1]
	v_fma_f32 v111, -v111, v115, v114
	v_mul_f32_e32 v114, v22, v17
	v_add_f32_e32 v116, s62, v116
	v_div_scale_f32 v117, s[0:1], v116, v116, v114
	v_rcp_f32_e32 v118, v117
	v_div_fmas_f32 v111, v111, v113, v115
	v_mul_f32_e32 v113, v24, v36
	v_div_fixup_f32 v21, v111, v21, v112
	v_mul_f32_e32 v115, 0x4f800000, v113
	v_cmp_gt_f32_e64 s[0:1], s74, v113
	v_fmac_f32_e32 v107, v21, v21
	v_fma_f32 v21, -v117, v118, 1.0
	v_cndmask_b32_e64 v113, v113, v115, s[0:1]
	v_fmac_f32_e32 v118, v21, v118
	v_div_scale_f32 v21, vcc, v114, v116, v114
	v_sqrt_f32_e32 v115, v113
	v_mul_f32_e32 v111, v21, v118
	v_fma_f32 v112, -v117, v111, v21
	v_fmac_f32_e32 v111, v112, v118
	v_fma_f32 v21, -v117, v111, v21
	v_add_u32_e32 v117, -1, v115
	v_fma_f32 v119, -v117, v115, v113
	v_cmp_ge_f32_e64 s[2:3], 0, v119
	v_add_u32_e32 v119, 1, v115
	v_cndmask_b32_e64 v117, v115, v117, s[2:3]
	v_fma_f32 v115, -v119, v115, v113
	v_cmp_lt_f32_e64 s[2:3], 0, v115
	v_cndmask_b32_e64 v115, v117, v119, s[2:3]
	v_mul_f32_e32 v117, 0x37800000, v115
	v_cndmask_b32_e64 v115, v115, v117, s[0:1]
	v_cmp_class_f32_e64 s[0:1], v113, v109
	v_cndmask_b32_e64 v113, v115, v113, s[0:1]
	v_mul_f32_e32 v112, v22, v37
	v_add_f32_e32 v113, s62, v113
	v_div_scale_f32 v115, s[0:1], v113, v113, v112
	v_rcp_f32_e32 v117, v115
	v_div_fmas_f32 v21, v21, v118, v111
	v_div_fixup_f32 v21, v21, v116, v114
	v_mul_f32_e32 v116, v24, v40
	v_mul_f32_e32 v118, 0x4f800000, v116
	v_cmp_gt_f32_e64 s[0:1], s74, v116
	v_cndmask_b32_e64 v116, v116, v118, s[0:1]
	v_fmac_f32_e32 v107, v21, v21
	v_fma_f32 v21, -v115, v117, 1.0
	v_sqrt_f32_e32 v118, v116
	v_fmac_f32_e32 v117, v21, v117
	v_div_scale_f32 v21, vcc, v112, v113, v112
	v_mul_f32_e32 v111, v21, v117
	v_fma_f32 v114, -v115, v111, v21
	v_fmac_f32_e32 v111, v114, v117
	v_add_u32_e32 v114, -1, v118
	v_fma_f32 v21, -v115, v111, v21
	v_fma_f32 v115, -v114, v118, v116
	v_cmp_ge_f32_e64 s[2:3], 0, v115
	v_add_u32_e32 v115, 1, v118
	v_cndmask_b32_e64 v114, v118, v114, s[2:3]
	v_fma_f32 v118, -v115, v118, v116
	v_cmp_lt_f32_e64 s[2:3], 0, v118
	v_cndmask_b32_e64 v114, v114, v115, s[2:3]
	v_mul_f32_e32 v115, 0x37800000, v114
	v_cndmask_b32_e64 v114, v114, v115, s[0:1]
	v_cmp_class_f32_e64 s[0:1], v116, v109
	v_cndmask_b32_e64 v114, v114, v116, s[0:1]
	v_mul_f32_e32 v119, v22, v41
	v_add_f32_e32 v116, s62, v114
	v_div_fmas_f32 v21, v21, v117, v111
	v_div_scale_f32 v114, s[0:1], v116, v116, v119
	v_div_fixup_f32 v21, v21, v113, v112
	v_pk_mul_f32 v[112:113], v[24:25], v[4:5]
	v_mul_f32_e32 v117, 0x4f800000, v113
	v_cmp_gt_f32_e64 s[0:1], s74, v113
	v_cndmask_b32_e64 v113, v113, v117, s[0:1]
	v_sqrt_f32_e32 v117, v113
	v_rcp_f32_e32 v118, v114
	v_fmac_f32_e32 v107, v21, v21
	v_add_u32_e32 v120, -1, v117
	v_fma_f32 v121, -v120, v117, v113
	v_cmp_ge_f32_e64 s[2:3], 0, v121
	v_add_u32_e32 v121, 1, v117
	v_cndmask_b32_e64 v120, v117, v120, s[2:3]
	v_fma_f32 v117, -v121, v117, v113
	v_cmp_lt_f32_e64 s[2:3], 0, v117
	v_cndmask_b32_e64 v117, v120, v121, s[2:3]
	v_mul_f32_e32 v121, 0x4f800000, v112
	v_cmp_gt_f32_e64 s[2:3], s74, v112
	v_cndmask_b32_e64 v112, v112, v121, s[2:3]
	v_sqrt_f32_e32 v121, v112
	v_mul_f32_e32 v120, 0x37800000, v117
	v_cndmask_b32_e64 v117, v117, v120, s[0:1]
	v_cmp_class_f32_e64 s[0:1], v113, v109
	v_cndmask_b32_e64 v113, v117, v113, s[0:1]
	v_add_u32_e32 v117, -1, v121
	v_fma_f32 v120, -v117, v121, v112
	v_cmp_ge_f32_e64 s[0:1], 0, v120
	v_add_u32_e32 v120, 1, v121
	v_cndmask_b32_e64 v117, v121, v117, s[0:1]
	v_fma_f32 v121, -v120, v121, v112
	v_fma_f32 v21, -v114, v118, 1.0
	v_cmp_lt_f32_e64 s[0:1], 0, v121
	v_fmac_f32_e32 v118, v21, v118
	v_div_scale_f32 v21, vcc, v119, v116, v119
	v_cndmask_b32_e64 v117, v117, v120, s[0:1]
	v_mul_f32_e32 v111, v21, v118
	v_mul_f32_e32 v120, 0x37800000, v117
	v_fma_f32 v115, -v114, v111, v21
	v_cndmask_b32_e64 v117, v117, v120, s[2:3]
	v_cmp_class_f32_e64 s[0:1], v112, v109
	v_fmac_f32_e32 v111, v115, v118
	v_cndmask_b32_e64 v112, v117, v112, s[0:1]
	v_fma_f32 v21, -v114, v111, v21
	v_pk_mul_f32 v[114:115], v[22:23], v[2:3]
	v_pk_add_f32 v[112:113], v[112:113], s[62:63]
	v_div_scale_f32 v117, s[0:1], v113, v113, v115
	v_rcp_f32_e32 v120, v117
	v_div_fmas_f32 v21, v21, v118, v111
	v_div_fixup_f32 v21, v21, v116, v119
	v_fmac_f32_e32 v107, v21, v21
	v_fma_f32 v21, -v117, v120, 1.0
	v_fmac_f32_e32 v120, v21, v120
	v_div_scale_f32 v21, vcc, v115, v113, v115
	v_mul_f32_e32 v111, v21, v120
	v_fma_f32 v116, -v117, v111, v21
	v_fmac_f32_e32 v111, v116, v120
	v_div_scale_f32 v116, s[0:1], v112, v112, v114
	v_fma_f32 v21, -v117, v111, v21
	v_rcp_f32_e32 v117, v116
	v_div_fmas_f32 v21, v21, v120, v111
	v_div_fixup_f32 v113, v21, v113, v115
	v_fma_f32 v21, -v116, v117, 1.0
	v_fmac_f32_e32 v117, v21, v117
	v_div_scale_f32 v21, vcc, v114, v112, v114
	v_mul_f32_e32 v111, v21, v117
	v_fma_f32 v115, -v116, v111, v21
	v_fmac_f32_e32 v111, v115, v117
	v_fma_f32 v21, -v116, v111, v21
	v_div_fmas_f32 v21, v21, v117, v111
	v_div_fixup_f32 v112, v21, v112, v114
	v_mov_b32_e32 v114, v34
	v_mov_b32_e32 v115, v14
	v_pk_mul_f32 v[114:115], v[24:25], v[114:115]
	v_mul_f32_e32 v21, 0x4f800000, v115
	v_cmp_gt_f32_e32 vcc, s74, v115
	v_cndmask_b32_e32 v21, v115, v21, vcc
	v_sqrt_f32_e32 v111, v21
	v_mov_b32_e32 v116, v35
	v_mov_b32_e32 v117, v15
	v_pk_mul_f32 v[116:117], v[22:23], v[116:117]
	v_add_u32_e32 v115, -1, v111
	v_fma_f32 v118, -v115, v111, v21
	v_cmp_ge_f32_e64 s[0:1], 0, v118
	v_add_u32_e32 v118, 1, v111
	v_cndmask_b32_e64 v115, v111, v115, s[0:1]
	v_fma_f32 v111, -v118, v111, v21
	v_cmp_lt_f32_e64 s[0:1], 0, v111
	v_cndmask_b32_e64 v111, v115, v118, s[0:1]
	v_mul_f32_e32 v118, 0x4f800000, v114
	v_cmp_gt_f32_e64 s[0:1], s74, v114
	v_cndmask_b32_e64 v114, v114, v118, s[0:1]
	v_sqrt_f32_e32 v118, v114
	v_mul_f32_e32 v115, 0x37800000, v111
	v_cndmask_b32_e32 v111, v111, v115, vcc
	v_cmp_class_f32_e32 vcc, v21, v109
	v_cndmask_b32_e32 v115, v111, v21, vcc
	v_add_u32_e32 v21, -1, v118
	v_fma_f32 v111, -v21, v118, v114
	v_cmp_ge_f32_e32 vcc, 0, v111
	v_add_u32_e32 v111, 1, v118
	v_cndmask_b32_e32 v21, v118, v21, vcc
	v_fma_f32 v118, -v111, v118, v114
	v_cmp_lt_f32_e32 vcc, 0, v118
	v_cndmask_b32_e32 v21, v21, v111, vcc
	v_mul_f32_e32 v111, 0x37800000, v21
	v_cndmask_b32_e64 v21, v21, v111, s[0:1]
	v_cmp_class_f32_e32 vcc, v114, v109
	v_cndmask_b32_e32 v114, v21, v114, vcc
	v_pk_add_f32 v[114:115], v[114:115], s[62:63]
	v_div_scale_f32 v21, s[0:1], v115, v115, v117
	v_rcp_f32_e32 v111, v21
	v_pk_mul_f32 v[112:113], v[112:113], v[112:113]
	v_add_f32_e32 v107, v107, v112
	v_add_f32_e32 v107, v107, v113
	v_fma_f32 v112, -v21, v111, 1.0
	v_fmac_f32_e32 v111, v112, v111
	v_div_scale_f32 v112, vcc, v117, v115, v117
	v_mul_f32_e32 v113, v112, v111
	v_fma_f32 v118, -v21, v113, v112
	v_fmac_f32_e32 v113, v118, v111
	v_fma_f32 v21, -v21, v113, v112
	v_div_scale_f32 v112, s[0:1], v114, v114, v116
	v_rcp_f32_e32 v118, v112
	v_div_fmas_f32 v21, v21, v111, v113
	v_div_fixup_f32 v113, v21, v115, v117
	v_mov_b32_e32 v117, v13
	v_fma_f32 v21, -v112, v118, 1.0
	v_fmac_f32_e32 v118, v21, v118
	v_div_scale_f32 v21, vcc, v116, v114, v116
	v_mul_f32_e32 v111, v21, v118
	v_fma_f32 v115, -v112, v111, v21
	v_fmac_f32_e32 v111, v115, v118
	v_fma_f32 v21, -v112, v111, v21
	v_div_fmas_f32 v21, v21, v118, v111
	v_div_fixup_f32 v112, v21, v114, v116
	v_mov_b32_e32 v114, v38
	v_mov_b32_e32 v115, v12
	v_pk_mul_f32 v[114:115], v[24:25], v[114:115]
	v_mul_f32_e32 v21, 0x4f800000, v115
	v_cmp_gt_f32_e32 vcc, s74, v115
	v_cndmask_b32_e32 v21, v115, v21, vcc
	v_sqrt_f32_e32 v111, v21
	v_mov_b32_e32 v116, v39
	v_pk_mul_f32 v[116:117], v[22:23], v[116:117]
	v_pk_mul_f32 v[112:113], v[112:113], v[112:113]
	v_add_u32_e32 v115, -1, v111
	v_fma_f32 v118, -v115, v111, v21
	v_cmp_ge_f32_e64 s[0:1], 0, v118
	v_add_u32_e32 v118, 1, v111
	v_cndmask_b32_e64 v115, v111, v115, s[0:1]
	v_fma_f32 v111, -v118, v111, v21
	v_cmp_lt_f32_e64 s[0:1], 0, v111
	v_cndmask_b32_e64 v111, v115, v118, s[0:1]
	v_mul_f32_e32 v118, 0x4f800000, v114
	v_cmp_gt_f32_e64 s[0:1], s74, v114
	v_cndmask_b32_e64 v114, v114, v118, s[0:1]
	v_sqrt_f32_e32 v118, v114
	v_mul_f32_e32 v115, 0x37800000, v111
	v_cndmask_b32_e32 v111, v111, v115, vcc
	v_cmp_class_f32_e32 vcc, v21, v109
	v_cndmask_b32_e32 v115, v111, v21, vcc
	v_add_u32_e32 v21, -1, v118
	v_fma_f32 v111, -v21, v118, v114
	v_cmp_ge_f32_e32 vcc, 0, v111
	v_add_u32_e32 v111, 1, v118
	v_cndmask_b32_e32 v21, v118, v21, vcc
	v_fma_f32 v118, -v111, v118, v114
	v_cmp_lt_f32_e32 vcc, 0, v118
	v_cndmask_b32_e32 v21, v21, v111, vcc
	v_mul_f32_e32 v111, 0x37800000, v21
	v_cndmask_b32_e64 v21, v21, v111, s[0:1]
	v_cmp_class_f32_e32 vcc, v114, v109
	v_cndmask_b32_e32 v114, v21, v114, vcc
	v_pk_add_f32 v[114:115], v[114:115], s[62:63]
	v_div_scale_f32 v21, s[0:1], v115, v115, v117
	v_rcp_f32_e32 v111, v21
	v_add_f32_e32 v107, v107, v112
	v_add_f32_e32 v107, v107, v113
	v_fma_f32 v112, -v21, v111, 1.0
	v_fmac_f32_e32 v111, v112, v111
	v_div_scale_f32 v112, vcc, v117, v115, v117
	v_mul_f32_e32 v113, v112, v111
	v_fma_f32 v118, -v21, v113, v112
	v_fmac_f32_e32 v113, v118, v111
	v_fma_f32 v21, -v21, v113, v112
	v_div_scale_f32 v112, s[0:1], v114, v114, v116
	v_rcp_f32_e32 v118, v112
	v_div_fmas_f32 v21, v21, v111, v113
	v_div_fixup_f32 v113, v21, v115, v117
	v_mov_b32_e32 v117, v11
	v_fma_f32 v21, -v112, v118, 1.0
	v_fmac_f32_e32 v118, v21, v118
	v_div_scale_f32 v21, vcc, v116, v114, v116
	v_mul_f32_e32 v111, v21, v118
	v_fma_f32 v115, -v112, v111, v21
	v_fmac_f32_e32 v111, v115, v118
	v_fma_f32 v21, -v112, v111, v21
	v_div_fmas_f32 v21, v21, v118, v111
	v_div_fixup_f32 v112, v21, v114, v116
	v_mov_b32_e32 v114, v42
	v_mov_b32_e32 v115, v10
	v_pk_mul_f32 v[114:115], v[24:25], v[114:115]
	v_mul_f32_e32 v21, 0x4f800000, v115
	v_cmp_gt_f32_e32 vcc, s74, v115
	v_cndmask_b32_e32 v21, v115, v21, vcc
	v_sqrt_f32_e32 v111, v21
	v_mov_b32_e32 v116, v43
	v_pk_mul_f32 v[116:117], v[22:23], v[116:117]
	v_pk_mul_f32 v[112:113], v[112:113], v[112:113]
	v_add_u32_e32 v115, -1, v111
	v_fma_f32 v118, -v115, v111, v21
	v_cmp_ge_f32_e64 s[0:1], 0, v118
	v_add_u32_e32 v118, 1, v111
	v_cndmask_b32_e64 v115, v111, v115, s[0:1]
	v_fma_f32 v111, -v118, v111, v21
	v_cmp_lt_f32_e64 s[0:1], 0, v111
	v_cndmask_b32_e64 v111, v115, v118, s[0:1]
	v_mul_f32_e32 v118, 0x4f800000, v114
	v_cmp_gt_f32_e64 s[0:1], s74, v114
	v_cndmask_b32_e64 v114, v114, v118, s[0:1]
	v_sqrt_f32_e32 v118, v114
	v_mul_f32_e32 v115, 0x37800000, v111
	v_cndmask_b32_e32 v111, v111, v115, vcc
	v_cmp_class_f32_e32 vcc, v21, v109
	v_cndmask_b32_e32 v115, v111, v21, vcc
	v_add_u32_e32 v21, -1, v118
	v_fma_f32 v111, -v21, v118, v114
	v_cmp_ge_f32_e32 vcc, 0, v111
	v_add_u32_e32 v111, 1, v118
	v_cndmask_b32_e32 v21, v118, v21, vcc
	v_fma_f32 v118, -v111, v118, v114
	v_cmp_lt_f32_e32 vcc, 0, v118
	v_cndmask_b32_e32 v21, v21, v111, vcc
	v_mul_f32_e32 v111, 0x37800000, v21
	v_cndmask_b32_e64 v21, v21, v111, s[0:1]
	v_cmp_class_f32_e32 vcc, v114, v109
	v_cndmask_b32_e32 v114, v21, v114, vcc
	v_pk_add_f32 v[114:115], v[114:115], s[62:63]
	v_div_scale_f32 v21, s[0:1], v115, v115, v117
	v_rcp_f32_e32 v111, v21
	;; [unrolled: 64-line block ×4, first 2 shown]
	v_add_f32_e32 v107, v107, v112
	v_add_f32_e32 v107, v107, v113
	v_fma_f32 v112, -v21, v111, 1.0
	v_fmac_f32_e32 v111, v112, v111
	v_div_scale_f32 v112, vcc, v117, v115, v117
	v_mul_f32_e32 v113, v112, v111
	v_fma_f32 v118, -v21, v113, v112
	v_fmac_f32_e32 v113, v118, v111
	v_fma_f32 v21, -v21, v113, v112
	v_div_scale_f32 v112, s[0:1], v114, v114, v116
	v_rcp_f32_e32 v118, v112
	v_div_fmas_f32 v21, v21, v111, v113
	v_div_fixup_f32 v113, v21, v115, v117
	v_fma_f32 v21, -v112, v118, 1.0
	v_fmac_f32_e32 v118, v21, v118
	v_div_scale_f32 v21, vcc, v116, v114, v116
	v_mul_f32_e32 v111, v21, v118
	v_fma_f32 v115, -v112, v111, v21
	v_fmac_f32_e32 v111, v115, v118
	v_fma_f32 v21, -v112, v111, v21
	v_div_fmas_f32 v21, v21, v118, v111
	v_div_fixup_f32 v112, v21, v114, v116
	v_pk_mul_f32 v[112:113], v[112:113], v[112:113]
	v_add_f32_e32 v21, v107, v112
	v_add_f32_e32 v107, v21, v113
	s_branch .LBB91_7
.LBB91_61:                              ;   in Loop: Header=BB91_8 Depth=1
	global_load_dword v21, v[32:33], off
	v_mov_b32_e32 v2, v1
	v_mov_b32_e32 v3, v1
	;; [unrolled: 1-line block ×14, first 2 shown]
	v_pk_mov_b32 v[16:17], v[14:15], v[14:15] op_sel:[0,1]
	v_pk_mov_b32 v[14:15], v[12:13], v[12:13] op_sel:[0,1]
	;; [unrolled: 1-line block ×8, first 2 shown]
	s_or_b64 exec, exec, s[0:1]
	v_cmp_gt_u32_e64 s[26:27], s61, v53
	s_and_saveexec_b64 s[0:1], s[26:27]
	s_cbranch_execz .LBB91_10
.LBB91_62:                              ;   in Loop: Header=BB91_8 Depth=1
	global_load_dword v3, v[32:33], off offset:256
	s_or_b64 exec, exec, s[0:1]
	v_cmp_gt_u32_e64 s[24:25], s61, v54
	s_and_saveexec_b64 s[0:1], s[24:25]
	s_cbranch_execz .LBB91_11
.LBB91_63:                              ;   in Loop: Header=BB91_8 Depth=1
	global_load_dword v4, v[32:33], off offset:512
	s_or_b64 exec, exec, s[0:1]
	v_cmp_gt_u32_e64 s[22:23], s61, v55
	s_and_saveexec_b64 s[0:1], s[22:23]
	s_cbranch_execz .LBB91_12
.LBB91_64:                              ;   in Loop: Header=BB91_8 Depth=1
	global_load_dword v5, v[32:33], off offset:768
	s_or_b64 exec, exec, s[0:1]
	v_cmp_gt_u32_e64 s[20:21], s61, v56
	s_and_saveexec_b64 s[0:1], s[20:21]
	s_cbranch_execz .LBB91_13
.LBB91_65:                              ;   in Loop: Header=BB91_8 Depth=1
	global_load_dword v6, v[32:33], off offset:1024
	s_or_b64 exec, exec, s[0:1]
	v_cmp_gt_u32_e64 s[18:19], s61, v57
	s_and_saveexec_b64 s[0:1], s[18:19]
	s_cbranch_execz .LBB91_14
.LBB91_66:                              ;   in Loop: Header=BB91_8 Depth=1
	global_load_dword v7, v[32:33], off offset:1280
	s_or_b64 exec, exec, s[0:1]
	v_cmp_gt_u32_e64 s[16:17], s61, v58
	s_and_saveexec_b64 s[0:1], s[16:17]
	s_cbranch_execz .LBB91_15
.LBB91_67:                              ;   in Loop: Header=BB91_8 Depth=1
	global_load_dword v8, v[32:33], off offset:1536
	s_or_b64 exec, exec, s[0:1]
	v_cmp_gt_u32_e64 s[14:15], s61, v59
	s_and_saveexec_b64 s[0:1], s[14:15]
	s_cbranch_execz .LBB91_16
.LBB91_68:                              ;   in Loop: Header=BB91_8 Depth=1
	global_load_dword v9, v[32:33], off offset:1792
	s_or_b64 exec, exec, s[0:1]
	v_cmp_gt_u32_e64 s[12:13], s61, v60
	s_and_saveexec_b64 s[0:1], s[12:13]
	s_cbranch_execz .LBB91_17
.LBB91_69:                              ;   in Loop: Header=BB91_8 Depth=1
	global_load_dword v10, v[32:33], off offset:2048
	s_or_b64 exec, exec, s[0:1]
	v_cmp_gt_u32_e64 s[10:11], s61, v61
	s_and_saveexec_b64 s[0:1], s[10:11]
	s_cbranch_execz .LBB91_18
.LBB91_70:                              ;   in Loop: Header=BB91_8 Depth=1
	global_load_dword v11, v[32:33], off offset:2304
	s_or_b64 exec, exec, s[0:1]
	v_cmp_gt_u32_e64 s[8:9], s61, v62
	s_and_saveexec_b64 s[0:1], s[8:9]
	s_cbranch_execz .LBB91_19
.LBB91_71:                              ;   in Loop: Header=BB91_8 Depth=1
	global_load_dword v12, v[32:33], off offset:2560
	s_or_b64 exec, exec, s[0:1]
	v_cmp_gt_u32_e64 s[6:7], s61, v63
	s_and_saveexec_b64 s[0:1], s[6:7]
	s_cbranch_execz .LBB91_20
.LBB91_72:                              ;   in Loop: Header=BB91_8 Depth=1
	global_load_dword v13, v[32:33], off offset:2816
	s_or_b64 exec, exec, s[0:1]
	v_cmp_gt_u32_e64 s[4:5], s61, v64
	s_and_saveexec_b64 s[0:1], s[4:5]
	s_cbranch_execz .LBB91_21
.LBB91_73:                              ;   in Loop: Header=BB91_8 Depth=1
	global_load_dword v14, v[32:33], off offset:3072
	s_or_b64 exec, exec, s[0:1]
	v_cmp_gt_u32_e64 s[2:3], s61, v65
	s_and_saveexec_b64 s[0:1], s[2:3]
	s_cbranch_execz .LBB91_22
.LBB91_74:                              ;   in Loop: Header=BB91_8 Depth=1
	global_load_dword v15, v[32:33], off offset:3328
	s_or_b64 exec, exec, s[0:1]
	v_cmp_gt_u32_e64 s[0:1], s61, v66
	s_and_saveexec_b64 s[30:31], s[0:1]
	s_cbranch_execz .LBB91_23
.LBB91_75:                              ;   in Loop: Header=BB91_8 Depth=1
	global_load_dword v16, v[32:33], off offset:3584
	s_or_b64 exec, exec, s[30:31]
	v_cmp_gt_u32_e32 vcc, s61, v67
	s_and_saveexec_b64 s[30:31], vcc
	s_cbranch_execnz .LBB91_24
	s_branch .LBB91_25
.LBB91_76:                              ;   in Loop: Header=BB91_8 Depth=1
	global_load_ubyte v5, v[2:3], off
	v_mov_b32_e32 v4, 0x80
	v_mov_b32_e32 v21, 0x80
	;; [unrolled: 1-line block ×14, first 2 shown]
	s_or_b64 exec, exec, s[30:31]
	v_mov_b32_e32 v111, v4
	s_and_saveexec_b64 s[30:31], s[26:27]
	s_cbranch_execz .LBB91_27
.LBB91_77:                              ;   in Loop: Header=BB91_8 Depth=1
	global_load_ubyte v111, v[2:3], off offset:64
	s_or_b64 exec, exec, s[30:31]
	s_and_saveexec_b64 s[30:31], s[24:25]
	s_cbranch_execz .LBB91_28
.LBB91_78:                              ;   in Loop: Header=BB91_8 Depth=1
	global_load_ubyte v4, v[2:3], off offset:128
	s_or_b64 exec, exec, s[30:31]
	s_and_saveexec_b64 s[30:31], s[22:23]
	s_cbranch_execz .LBB91_29
.LBB91_79:                              ;   in Loop: Header=BB91_8 Depth=1
	global_load_ubyte v21, v[2:3], off offset:192
	s_or_b64 exec, exec, s[30:31]
	s_and_saveexec_b64 s[30:31], s[20:21]
	s_cbranch_execz .LBB91_30
.LBB91_80:                              ;   in Loop: Header=BB91_8 Depth=1
	global_load_ubyte v36, v[2:3], off offset:256
	s_or_b64 exec, exec, s[30:31]
	s_and_saveexec_b64 s[30:31], s[18:19]
	s_cbranch_execz .LBB91_31
.LBB91_81:                              ;   in Loop: Header=BB91_8 Depth=1
	global_load_ubyte v37, v[2:3], off offset:320
	s_or_b64 exec, exec, s[30:31]
	s_and_saveexec_b64 s[30:31], s[16:17]
	s_cbranch_execz .LBB91_32
.LBB91_82:                              ;   in Loop: Header=BB91_8 Depth=1
	global_load_ubyte v38, v[2:3], off offset:384
	s_or_b64 exec, exec, s[30:31]
	s_and_saveexec_b64 s[30:31], s[14:15]
	s_cbranch_execz .LBB91_33
.LBB91_83:                              ;   in Loop: Header=BB91_8 Depth=1
	global_load_ubyte v39, v[2:3], off offset:448
	s_or_b64 exec, exec, s[30:31]
	s_and_saveexec_b64 s[30:31], s[12:13]
	s_cbranch_execz .LBB91_34
.LBB91_84:                              ;   in Loop: Header=BB91_8 Depth=1
	global_load_ubyte v40, v[2:3], off offset:512
	s_or_b64 exec, exec, s[30:31]
	s_and_saveexec_b64 s[30:31], s[10:11]
	s_cbranch_execz .LBB91_35
.LBB91_85:                              ;   in Loop: Header=BB91_8 Depth=1
	global_load_ubyte v41, v[2:3], off offset:576
	s_or_b64 exec, exec, s[30:31]
	s_and_saveexec_b64 s[30:31], s[8:9]
	s_cbranch_execz .LBB91_36
.LBB91_86:                              ;   in Loop: Header=BB91_8 Depth=1
	global_load_ubyte v42, v[2:3], off offset:640
	s_or_b64 exec, exec, s[30:31]
	s_and_saveexec_b64 s[30:31], s[6:7]
	s_cbranch_execz .LBB91_37
.LBB91_87:                              ;   in Loop: Header=BB91_8 Depth=1
	global_load_ubyte v43, v[2:3], off offset:704
	s_or_b64 exec, exec, s[30:31]
	s_and_saveexec_b64 s[30:31], s[4:5]
	s_cbranch_execz .LBB91_38
.LBB91_88:                              ;   in Loop: Header=BB91_8 Depth=1
	global_load_ubyte v44, v[2:3], off offset:768
	s_or_b64 exec, exec, s[30:31]
	s_and_saveexec_b64 s[30:31], s[2:3]
	s_cbranch_execz .LBB91_39
.LBB91_89:                              ;   in Loop: Header=BB91_8 Depth=1
	global_load_ubyte v45, v[2:3], off offset:832
	s_or_b64 exec, exec, s[30:31]
	s_and_saveexec_b64 s[30:31], s[0:1]
	s_cbranch_execz .LBB91_40
.LBB91_90:                              ;   in Loop: Header=BB91_8 Depth=1
	global_load_ubyte v46, v[2:3], off offset:896
	s_or_b64 exec, exec, s[30:31]
	s_and_saveexec_b64 s[30:31], vcc
	s_cbranch_execnz .LBB91_41
	s_branch .LBB91_42
.LBB91_91:                              ;   in Loop: Header=BB91_8 Depth=1
	global_load_ubyte v38, v[36:37], off
	v_mov_b32_e32 v21, 0x80
	v_mov_b32_e32 v39, 0x80
	v_mov_b32_e32 v40, 0x80
	v_mov_b32_e32 v41, 0x80
	v_mov_b32_e32 v42, 0x80
	v_mov_b32_e32 v43, 0x80
	v_mov_b32_e32 v44, 0x80
	v_mov_b32_e32 v45, 0x80
	v_mov_b32_e32 v46, 0x80
	v_mov_b32_e32 v47, 0x80
	v_mov_b32_e32 v111, 0x80
	v_mov_b32_e32 v112, 0x80
	v_mov_b32_e32 v113, 0x80
	v_mov_b32_e32 v114, 0x80
	s_or_b64 exec, exec, s[30:31]
	v_mov_b32_e32 v115, v21
	s_and_saveexec_b64 s[28:29], s[26:27]
	s_cbranch_execz .LBB91_44
.LBB91_92:                              ;   in Loop: Header=BB91_8 Depth=1
	global_load_ubyte v115, v[36:37], off offset:64
	s_or_b64 exec, exec, s[28:29]
	s_and_saveexec_b64 s[26:27], s[24:25]
	s_cbranch_execz .LBB91_45
.LBB91_93:                              ;   in Loop: Header=BB91_8 Depth=1
	global_load_ubyte v21, v[36:37], off offset:128
	s_or_b64 exec, exec, s[26:27]
	s_and_saveexec_b64 s[24:25], s[22:23]
	s_cbranch_execz .LBB91_46
.LBB91_94:                              ;   in Loop: Header=BB91_8 Depth=1
	global_load_ubyte v39, v[36:37], off offset:192
	s_or_b64 exec, exec, s[24:25]
	s_and_saveexec_b64 s[22:23], s[20:21]
	s_cbranch_execz .LBB91_47
.LBB91_95:                              ;   in Loop: Header=BB91_8 Depth=1
	global_load_ubyte v40, v[36:37], off offset:256
	s_or_b64 exec, exec, s[22:23]
	s_and_saveexec_b64 s[20:21], s[18:19]
	s_cbranch_execz .LBB91_48
.LBB91_96:                              ;   in Loop: Header=BB91_8 Depth=1
	global_load_ubyte v41, v[36:37], off offset:320
	s_or_b64 exec, exec, s[20:21]
	s_and_saveexec_b64 s[18:19], s[16:17]
	s_cbranch_execz .LBB91_49
.LBB91_97:                              ;   in Loop: Header=BB91_8 Depth=1
	global_load_ubyte v42, v[36:37], off offset:384
	s_or_b64 exec, exec, s[18:19]
	s_and_saveexec_b64 s[16:17], s[14:15]
	s_cbranch_execz .LBB91_50
.LBB91_98:                              ;   in Loop: Header=BB91_8 Depth=1
	global_load_ubyte v43, v[36:37], off offset:448
	s_or_b64 exec, exec, s[16:17]
	s_and_saveexec_b64 s[14:15], s[12:13]
	s_cbranch_execz .LBB91_51
.LBB91_99:                              ;   in Loop: Header=BB91_8 Depth=1
	global_load_ubyte v44, v[36:37], off offset:512
	s_or_b64 exec, exec, s[14:15]
	s_and_saveexec_b64 s[12:13], s[10:11]
	s_cbranch_execz .LBB91_52
.LBB91_100:                             ;   in Loop: Header=BB91_8 Depth=1
	global_load_ubyte v45, v[36:37], off offset:576
	s_or_b64 exec, exec, s[12:13]
	s_and_saveexec_b64 s[10:11], s[8:9]
	s_cbranch_execz .LBB91_53
.LBB91_101:                             ;   in Loop: Header=BB91_8 Depth=1
	global_load_ubyte v46, v[36:37], off offset:640
	s_or_b64 exec, exec, s[10:11]
	s_and_saveexec_b64 s[8:9], s[6:7]
	s_cbranch_execz .LBB91_54
.LBB91_102:                             ;   in Loop: Header=BB91_8 Depth=1
	global_load_ubyte v47, v[36:37], off offset:704
	s_or_b64 exec, exec, s[8:9]
	s_and_saveexec_b64 s[6:7], s[4:5]
	s_cbranch_execz .LBB91_55
.LBB91_103:                             ;   in Loop: Header=BB91_8 Depth=1
	global_load_ubyte v111, v[36:37], off offset:768
	s_or_b64 exec, exec, s[6:7]
	s_and_saveexec_b64 s[4:5], s[2:3]
	s_cbranch_execz .LBB91_56
.LBB91_104:                             ;   in Loop: Header=BB91_8 Depth=1
	global_load_ubyte v112, v[36:37], off offset:832
	s_or_b64 exec, exec, s[4:5]
	s_and_saveexec_b64 s[2:3], s[0:1]
	s_cbranch_execz .LBB91_57
.LBB91_105:                             ;   in Loop: Header=BB91_8 Depth=1
	global_load_ubyte v113, v[36:37], off offset:896
	s_or_b64 exec, exec, s[2:3]
	s_and_saveexec_b64 s[0:1], vcc
	s_cbranch_execnz .LBB91_58
	s_branch .LBB91_59
.LBB91_106:
	v_and_b32_e32 v2, 63, v48
	v_cmp_ne_u32_e32 vcc, 63, v2
	v_addc_co_u32_e32 v1, vcc, 0, v48, vcc
	v_lshlrev_b32_e32 v1, 2, v1
	ds_bpermute_b32 v3, v1, v108
	v_sub_u32_e64 v4, s61, v49 clamp
	v_add_u32_e32 v5, 1, v48
	v_cmp_lt_u32_e64 s[0:1], v5, v4
	v_add_u32_e32 v7, 2, v48
	s_waitcnt lgkmcnt(0)
	v_cmp_lt_f32_e32 vcc, v108, v3
	v_cndmask_b32_e32 v3, v108, v3, vcc
	v_cmp_gt_u32_e32 vcc, 62, v2
	v_cndmask_b32_e64 v5, v108, v3, s[0:1]
	v_cndmask_b32_e64 v3, 0, 1, vcc
	v_lshlrev_b32_e32 v3, 1, v3
	v_add_lshl_u32 v3, v3, v48, 2
	ds_bpermute_b32 v6, v3, v5
	v_cmp_lt_u32_e64 s[2:3], v7, v4
	v_add_u32_e32 v8, 4, v48
	v_cmp_lt_u32_e64 s[4:5], v8, v4
	v_add_u32_e32 v9, 8, v48
	s_waitcnt lgkmcnt(0)
	v_cmp_lt_f32_e32 vcc, v5, v6
	v_cndmask_b32_e32 v6, v5, v6, vcc
	v_cmp_gt_u32_e32 vcc, 60, v2
	v_cndmask_b32_e64 v6, v5, v6, s[2:3]
	v_cndmask_b32_e64 v5, 0, 1, vcc
	v_lshlrev_b32_e32 v5, 2, v5
	v_add_lshl_u32 v5, v5, v48, 2
	ds_bpermute_b32 v7, v5, v6
	v_cmp_lt_u32_e64 s[6:7], v9, v4
	s_or_b64 s[8:9], s[0:1], s[2:3]
	v_add_u32_e32 v10, 16, v48
	s_or_b64 s[10:11], s[4:5], s[8:9]
	s_waitcnt lgkmcnt(0)
	v_cmp_lt_f32_e32 vcc, v6, v7
	v_cndmask_b32_e32 v7, v6, v7, vcc
	v_cmp_gt_u32_e32 vcc, 56, v2
	v_cndmask_b32_e64 v7, v6, v7, s[4:5]
	v_cndmask_b32_e64 v6, 0, 1, vcc
	v_lshlrev_b32_e32 v6, 3, v6
	v_add_lshl_u32 v6, v6, v48, 2
	ds_bpermute_b32 v8, v6, v7
	v_cmp_lt_u32_e64 s[8:9], v10, v4
	s_or_b64 s[10:11], s[6:7], s[10:11]
	v_add_u32_e32 v10, 32, v48
	s_or_b64 s[12:13], s[8:9], s[10:11]
	s_waitcnt lgkmcnt(0)
	v_cmp_lt_f32_e32 vcc, v7, v8
	v_cndmask_b32_e32 v8, v7, v8, vcc
	v_cmp_gt_u32_e32 vcc, 48, v2
	v_cndmask_b32_e64 v8, v7, v8, s[6:7]
	v_cndmask_b32_e64 v7, 0, 1, vcc
	v_lshlrev_b32_e32 v7, 4, v7
	v_add_lshl_u32 v7, v7, v48, 2
	ds_bpermute_b32 v9, v7, v8
	v_cmp_lt_u32_e64 s[10:11], v10, v4
	v_cmp_eq_u32_e64 s[14:15], 0, v48
	s_waitcnt lgkmcnt(0)
	s_barrier
	v_cmp_lt_f32_e32 vcc, v8, v9
	v_cndmask_b32_e32 v9, v8, v9, vcc
	v_cmp_gt_u32_e32 vcc, 32, v2
	v_cndmask_b32_e64 v2, 0, 1, vcc
	v_lshlrev_b32_e32 v2, 5, v2
	v_cndmask_b32_e64 v9, v8, v9, s[8:9]
	v_add_lshl_u32 v8, v2, v48, 2
	ds_bpermute_b32 v2, v8, v9
	s_waitcnt lgkmcnt(0)
	v_cmp_lt_f32_e32 vcc, v9, v2
	s_and_b64 vcc, s[10:11], vcc
	v_cndmask_b32_e32 v2, v9, v2, vcc
	s_or_b64 vcc, s[10:11], s[12:13]
	v_cndmask_b32_e32 v2, v108, v2, vcc
	s_and_saveexec_b64 s[12:13], s[14:15]
	s_cbranch_execz .LBB91_108
; %bb.107:
	v_lshrrev_b32_e32 v4, 4, v0
	v_and_b32_e32 v4, 12, v4
	ds_write_b32 v4, v2
.LBB91_108:
	s_or_b64 exec, exec, s[12:13]
	v_cmp_gt_u32_e64 s[12:13], 4, v0
	s_waitcnt lgkmcnt(0)
	s_barrier
	s_and_saveexec_b64 s[22:23], s[12:13]
	s_cbranch_execz .LBB91_110
; %bb.109:
	v_lshlrev_b32_e32 v2, 2, v48
	ds_read_b32 v2, v2
	v_and_b32_e32 v4, 3, v48
	v_cmp_ne_u32_e64 s[16:17], 3, v4
	v_addc_co_u32_e64 v9, s[16:17], 0, v48, s[16:17]
	v_lshlrev_b32_e32 v9, 2, v9
	s_waitcnt lgkmcnt(0)
	ds_bpermute_b32 v9, v9, v2
	s_add_i32 s16, s61, 63
	v_cmp_gt_u32_e64 s[18:19], 2, v4
	s_lshr_b32 s20, s16, 6
	v_add_u32_e32 v10, 1, v4
	s_waitcnt lgkmcnt(0)
	v_cmp_lt_f32_e64 s[16:17], v2, v9
	v_cndmask_b32_e64 v11, 0, 1, s[18:19]
	v_cndmask_b32_e64 v9, v2, v9, s[16:17]
	v_cmp_gt_u32_e64 s[16:17], s20, v10
	v_lshlrev_b32_e32 v11, 1, v11
	v_cndmask_b32_e64 v10, v2, v9, s[16:17]
	v_add_lshl_u32 v11, v11, v48, 2
	ds_bpermute_b32 v10, v11, v10
	v_add_u32_e32 v4, 2, v4
	v_cmp_gt_u32_e64 s[18:19], s20, v4
	s_waitcnt lgkmcnt(0)
	v_cmp_lt_f32_e64 s[20:21], v9, v10
	s_and_b64 s[18:19], s[18:19], s[20:21]
	v_cndmask_b32_e64 v4, v9, v10, s[18:19]
	v_cndmask_b32_e64 v2, v2, v4, s[16:17]
.LBB91_110:
	s_or_b64 exec, exec, s[22:23]
	ds_bpermute_b32 v4, v1, v106
	s_waitcnt lgkmcnt(0)
	s_barrier
	v_cmp_lt_f32_e64 s[16:17], v106, v4
	v_cndmask_b32_e64 v4, v106, v4, s[16:17]
	v_cndmask_b32_e64 v4, v106, v4, s[0:1]
	ds_bpermute_b32 v9, v3, v4
	s_waitcnt lgkmcnt(0)
	v_cmp_lt_f32_e64 s[16:17], v4, v9
	v_cndmask_b32_e64 v9, v4, v9, s[16:17]
	v_cndmask_b32_e64 v4, v4, v9, s[2:3]
	ds_bpermute_b32 v9, v5, v4
	s_waitcnt lgkmcnt(0)
	;; [unrolled: 5-line block ×5, first 2 shown]
	v_cmp_lt_f32_e64 s[16:17], v4, v9
	s_and_b64 s[16:17], s[10:11], s[16:17]
	v_cndmask_b32_e64 v4, v4, v9, s[16:17]
	v_cndmask_b32_e32 v4, v106, v4, vcc
	s_and_saveexec_b64 s[16:17], s[14:15]
	s_cbranch_execz .LBB91_112
; %bb.111:
	v_lshrrev_b32_e32 v9, 4, v0
	v_and_b32_e32 v9, 12, v9
	ds_write_b32 v9, v4
.LBB91_112:
	s_or_b64 exec, exec, s[16:17]
	s_waitcnt lgkmcnt(0)
	s_barrier
	s_and_saveexec_b64 s[20:21], s[12:13]
	s_cbranch_execz .LBB91_114
; %bb.113:
	v_lshlrev_b32_e32 v4, 2, v48
	ds_read_b32 v4, v4
	v_and_b32_e32 v9, 3, v48
	v_cmp_ne_u32_e32 vcc, 3, v9
	v_addc_co_u32_e32 v10, vcc, 0, v48, vcc
	v_lshlrev_b32_e32 v10, 2, v10
	s_waitcnt lgkmcnt(0)
	ds_bpermute_b32 v10, v10, v4
	s_add_i32 s16, s61, 63
	s_lshr_b32 s18, s16, 6
	v_cmp_gt_u32_e64 s[16:17], 2, v9
	v_add_u32_e32 v11, 1, v9
	s_waitcnt lgkmcnt(0)
	v_cmp_lt_f32_e32 vcc, v4, v10
	v_cndmask_b32_e64 v12, 0, 1, s[16:17]
	v_cndmask_b32_e32 v10, v4, v10, vcc
	v_cmp_gt_u32_e32 vcc, s18, v11
	v_lshlrev_b32_e32 v12, 1, v12
	v_cndmask_b32_e32 v11, v4, v10, vcc
	v_add_lshl_u32 v12, v12, v48, 2
	ds_bpermute_b32 v11, v12, v11
	v_add_u32_e32 v9, 2, v9
	v_cmp_gt_u32_e64 s[16:17], s18, v9
	s_waitcnt lgkmcnt(0)
	v_cmp_lt_f32_e64 s[18:19], v10, v11
	s_and_b64 s[16:17], s[16:17], s[18:19]
	v_cndmask_b32_e64 v9, v10, v11, s[16:17]
	v_cndmask_b32_e32 v4, v4, v9, vcc
.LBB91_114:
	s_or_b64 exec, exec, s[20:21]
	s_cmp_lg_u64 s[34:35], 0
	s_cselect_b64 s[16:17], -1, 0
	s_and_b64 vcc, exec, s[16:17]
	s_cbranch_vccz .LBB91_120
; %bb.115:
	ds_bpermute_b32 v1, v1, v107
	s_waitcnt lgkmcnt(0)
	s_barrier
	v_add_f32_e32 v1, v107, v1
	v_cndmask_b32_e64 v1, v107, v1, s[0:1]
	ds_bpermute_b32 v3, v3, v1
	s_waitcnt lgkmcnt(0)
	v_add_f32_e32 v3, v1, v3
	v_cndmask_b32_e64 v1, v1, v3, s[2:3]
	ds_bpermute_b32 v3, v5, v1
	s_waitcnt lgkmcnt(0)
	;; [unrolled: 4-line block ×5, first 2 shown]
	v_add_f32_e32 v3, v1, v3
	v_cndmask_b32_e64 v107, v1, v3, s[10:11]
	s_and_saveexec_b64 s[0:1], s[14:15]
	s_cbranch_execz .LBB91_117
; %bb.116:
	v_lshrrev_b32_e32 v1, 4, v0
	v_and_b32_e32 v1, 12, v1
	ds_write_b32 v1, v107
.LBB91_117:
	s_or_b64 exec, exec, s[0:1]
	s_waitcnt lgkmcnt(0)
	s_barrier
	s_and_saveexec_b64 s[2:3], s[12:13]
	s_cbranch_execz .LBB91_119
; %bb.118:
	v_lshlrev_b32_e32 v1, 2, v48
	ds_read_b32 v1, v1
	v_and_b32_e32 v3, 3, v48
	v_cmp_ne_u32_e32 vcc, 3, v3
	v_addc_co_u32_e32 v5, vcc, 0, v48, vcc
	v_lshlrev_b32_e32 v5, 2, v5
	s_waitcnt lgkmcnt(0)
	ds_bpermute_b32 v5, v5, v1
	s_add_i32 s61, s61, 63
	s_lshr_b32 s4, s61, 6
	v_add_u32_e32 v6, 1, v3
	v_cmp_gt_u32_e64 s[0:1], 2, v3
	v_cmp_gt_u32_e32 vcc, s4, v6
	v_cndmask_b32_e64 v6, 0, 1, s[0:1]
	s_waitcnt lgkmcnt(0)
	v_add_f32_e32 v5, v1, v5
	v_lshlrev_b32_e32 v6, 1, v6
	v_cndmask_b32_e32 v5, v1, v5, vcc
	v_add_lshl_u32 v6, v6, v48, 2
	ds_bpermute_b32 v6, v6, v5
	v_add_u32_e32 v3, 2, v3
	v_cmp_gt_u32_e64 s[0:1], s4, v3
	s_waitcnt lgkmcnt(0)
	v_add_f32_e32 v6, v5, v6
	v_cndmask_b32_e64 v3, v5, v6, s[0:1]
	v_cndmask_b32_e32 v107, v1, v3, vcc
.LBB91_119:
	s_or_b64 exec, exec, s[2:3]
.LBB91_120:
	v_cmp_eq_u32_e32 vcc, 0, v0
	s_and_saveexec_b64 s[0:1], vcc
	s_cbranch_execz .LBB91_135
; %bb.121:
	v_mov_b32_e32 v0, 0
	global_load_dword v3, v0, s[56:57] glc
	s_brev_b32 s0, 1
	v_cmp_eq_f32_e32 vcc, 0, v2
	s_mov_b64 s[2:3], 0
                                        ; implicit-def: $sgpr4_sgpr5
                                        ; implicit-def: $sgpr8_sgpr9
	s_waitcnt vmcnt(0)
	v_cmp_eq_u32_e64 s[6:7], s0, v3
	s_branch .LBB91_123
.LBB91_122:                             ;   in Loop: Header=BB91_123 Depth=1
	s_or_b64 exec, exec, s[10:11]
	s_and_b64 s[0:1], exec, s[4:5]
	s_or_b64 s[2:3], s[0:1], s[2:3]
	s_andn2_b64 s[0:1], s[6:7], exec
	s_and_b64 s[6:7], s[8:9], exec
	s_or_b64 s[6:7], s[0:1], s[6:7]
	s_andn2_b64 exec, exec, s[2:3]
	s_cbranch_execz .LBB91_125
.LBB91_123:                             ; =>This Inner Loop Header: Depth=1
	v_cmp_lt_f32_e64 s[0:1], v3, v2
	s_and_b64 s[10:11], vcc, s[6:7]
	s_or_b64 s[0:1], s[0:1], s[10:11]
	s_andn2_b64 s[8:9], s[8:9], exec
	s_or_b64 s[4:5], s[4:5], exec
	s_and_saveexec_b64 s[10:11], s[0:1]
	s_cbranch_execz .LBB91_122
; %bb.124:                              ;   in Loop: Header=BB91_123 Depth=1
	global_atomic_cmpswap v1, v0, v[2:3], s[56:57] glc
	s_andn2_b64 s[8:9], s[8:9], exec
	s_andn2_b64 s[4:5], s[4:5], exec
                                        ; implicit-def: $sgpr6_sgpr7
	s_waitcnt vmcnt(0)
	v_cmp_eq_u32_e64 s[0:1], v1, v3
	v_cndmask_b32_e64 v3, v1, v3, s[0:1]
	v_cmp_class_f32_e64 s[12:13], v3, 32
	s_and_b64 s[0:1], s[0:1], exec
	s_and_b64 s[12:13], s[12:13], exec
	s_or_b64 s[4:5], s[4:5], s[0:1]
	s_or_b64 s[8:9], s[8:9], s[12:13]
	v_mov_b32_e32 v3, v1
	s_branch .LBB91_122
.LBB91_125:
	s_or_b64 exec, exec, s[2:3]
	v_mov_b32_e32 v0, 0
	global_load_dword v5, v0, s[58:59] glc
	s_brev_b32 s0, 1
	v_cmp_eq_f32_e32 vcc, 0, v4
	s_mov_b64 s[2:3], 0
                                        ; implicit-def: $sgpr4_sgpr5
                                        ; implicit-def: $sgpr8_sgpr9
	s_waitcnt vmcnt(0)
	v_cmp_eq_u32_e64 s[6:7], s0, v5
	s_branch .LBB91_127
.LBB91_126:                             ;   in Loop: Header=BB91_127 Depth=1
	s_or_b64 exec, exec, s[10:11]
	s_and_b64 s[0:1], exec, s[4:5]
	s_or_b64 s[2:3], s[0:1], s[2:3]
	s_andn2_b64 s[0:1], s[6:7], exec
	s_and_b64 s[6:7], s[8:9], exec
	s_or_b64 s[6:7], s[0:1], s[6:7]
	s_andn2_b64 exec, exec, s[2:3]
	s_cbranch_execz .LBB91_129
.LBB91_127:                             ; =>This Inner Loop Header: Depth=1
	v_cmp_lt_f32_e64 s[0:1], v5, v4
	s_and_b64 s[10:11], vcc, s[6:7]
	s_or_b64 s[0:1], s[0:1], s[10:11]
	s_andn2_b64 s[8:9], s[8:9], exec
	s_or_b64 s[4:5], s[4:5], exec
	s_and_saveexec_b64 s[10:11], s[0:1]
	s_cbranch_execz .LBB91_126
; %bb.128:                              ;   in Loop: Header=BB91_127 Depth=1
	global_atomic_cmpswap v1, v0, v[4:5], s[58:59] glc
	s_andn2_b64 s[8:9], s[8:9], exec
	s_andn2_b64 s[4:5], s[4:5], exec
                                        ; implicit-def: $sgpr6_sgpr7
	s_waitcnt vmcnt(0)
	v_cmp_eq_u32_e64 s[0:1], v1, v5
	v_cndmask_b32_e64 v2, v1, v5, s[0:1]
	v_cmp_class_f32_e64 s[12:13], v2, 32
	s_and_b64 s[0:1], s[0:1], exec
	s_and_b64 s[12:13], s[12:13], exec
	s_or_b64 s[4:5], s[4:5], s[0:1]
	s_or_b64 s[8:9], s[8:9], s[12:13]
	v_mov_b32_e32 v5, v1
	s_branch .LBB91_126
.LBB91_129:
	s_or_b64 exec, exec, s[2:3]
	s_andn2_b64 vcc, exec, s[16:17]
	s_cbranch_vccnz .LBB91_135
; %bb.130:
	s_mov_b64 s[0:1], exec
	v_bfrev_b32_e32 v2, 1
.LBB91_131:                             ; =>This Inner Loop Header: Depth=1
	s_ff1_i32_b64 s2, s[0:1]
	v_readlane_b32 s4, v107, s2
	s_lshl_b64 s[2:3], 1, s2
	s_andn2_b64 s[0:1], s[0:1], s[2:3]
	s_cmp_lg_u64 s[0:1], 0
	v_add_f32_e32 v2, s4, v2
	s_cbranch_scc1 .LBB91_131
; %bb.132:
	v_mbcnt_lo_u32_b32 v0, exec_lo, 0
	v_mbcnt_hi_u32_b32 v0, exec_hi, v0
	v_cmp_eq_u32_e32 vcc, 0, v0
	s_and_saveexec_b64 s[0:1], vcc
	s_xor_b64 s[0:1], exec, s[0:1]
	s_cbranch_execz .LBB91_135
; %bb.133:
	v_mov_b32_e32 v3, 0
	global_load_dword v1, v3, s[34:35]
	s_mov_b64 s[0:1], 0
.LBB91_134:                             ; =>This Inner Loop Header: Depth=1
	s_waitcnt vmcnt(0)
	v_add_f32_e32 v0, v1, v2
	global_atomic_cmpswap v0, v3, v[0:1], s[34:35] glc
	s_waitcnt vmcnt(0)
	v_cmp_eq_u32_e32 vcc, v0, v1
	s_or_b64 s[0:1], vcc, s[0:1]
	v_mov_b32_e32 v1, v0
	s_andn2_b64 exec, exec, s[0:1]
	s_cbranch_execnz .LBB91_134
.LBB91_135:
	s_endpgm
	.section	.rodata,"a",@progbits
	.p2align	6, 0x0
	.amdhsa_kernel _Z38kPreconditionOptimizerStatic8bit2StateIfLi0EEvPT_S1_PhS2_PffffiS3_S3_S3_S3_S3_S3_fi
		.amdhsa_group_segment_fixed_size 18944
		.amdhsa_private_segment_fixed_size 0
		.amdhsa_kernarg_size 368
		.amdhsa_user_sgpr_count 6
		.amdhsa_user_sgpr_private_segment_buffer 1
		.amdhsa_user_sgpr_dispatch_ptr 0
		.amdhsa_user_sgpr_queue_ptr 0
		.amdhsa_user_sgpr_kernarg_segment_ptr 1
		.amdhsa_user_sgpr_dispatch_id 0
		.amdhsa_user_sgpr_flat_scratch_init 0
		.amdhsa_user_sgpr_kernarg_preload_length 0
		.amdhsa_user_sgpr_kernarg_preload_offset 0
		.amdhsa_user_sgpr_private_segment_size 0
		.amdhsa_uses_dynamic_stack 0
		.amdhsa_system_sgpr_private_segment_wavefront_offset 0
		.amdhsa_system_sgpr_workgroup_id_x 1
		.amdhsa_system_sgpr_workgroup_id_y 0
		.amdhsa_system_sgpr_workgroup_id_z 0
		.amdhsa_system_sgpr_workgroup_info 0
		.amdhsa_system_vgpr_workitem_id 0
		.amdhsa_next_free_vgpr 139
		.amdhsa_next_free_sgpr 75
		.amdhsa_accum_offset 140
		.amdhsa_reserve_vcc 1
		.amdhsa_reserve_flat_scratch 0
		.amdhsa_float_round_mode_32 0
		.amdhsa_float_round_mode_16_64 0
		.amdhsa_float_denorm_mode_32 3
		.amdhsa_float_denorm_mode_16_64 3
		.amdhsa_dx10_clamp 1
		.amdhsa_ieee_mode 1
		.amdhsa_fp16_overflow 0
		.amdhsa_tg_split 0
		.amdhsa_exception_fp_ieee_invalid_op 0
		.amdhsa_exception_fp_denorm_src 0
		.amdhsa_exception_fp_ieee_div_zero 0
		.amdhsa_exception_fp_ieee_overflow 0
		.amdhsa_exception_fp_ieee_underflow 0
		.amdhsa_exception_fp_ieee_inexact 0
		.amdhsa_exception_int_div_zero 0
	.end_amdhsa_kernel
	.section	.text._Z38kPreconditionOptimizerStatic8bit2StateIfLi0EEvPT_S1_PhS2_PffffiS3_S3_S3_S3_S3_S3_fi,"axG",@progbits,_Z38kPreconditionOptimizerStatic8bit2StateIfLi0EEvPT_S1_PhS2_PffffiS3_S3_S3_S3_S3_S3_fi,comdat
.Lfunc_end91:
	.size	_Z38kPreconditionOptimizerStatic8bit2StateIfLi0EEvPT_S1_PhS2_PffffiS3_S3_S3_S3_S3_S3_fi, .Lfunc_end91-_Z38kPreconditionOptimizerStatic8bit2StateIfLi0EEvPT_S1_PhS2_PffffiS3_S3_S3_S3_S3_S3_fi
                                        ; -- End function
	.section	.AMDGPU.csdata,"",@progbits
; Kernel info:
; codeLenInByte = 12764
; NumSgprs: 79
; NumVgprs: 139
; NumAgprs: 0
; TotalNumVgprs: 139
; ScratchSize: 0
; MemoryBound: 0
; FloatMode: 240
; IeeeMode: 1
; LDSByteSize: 18944 bytes/workgroup (compile time only)
; SGPRBlocks: 9
; VGPRBlocks: 17
; NumSGPRsForWavesPerEU: 79
; NumVGPRsForWavesPerEU: 139
; AccumOffset: 140
; Occupancy: 3
; WaveLimiterHint : 0
; COMPUTE_PGM_RSRC2:SCRATCH_EN: 0
; COMPUTE_PGM_RSRC2:USER_SGPR: 6
; COMPUTE_PGM_RSRC2:TRAP_HANDLER: 0
; COMPUTE_PGM_RSRC2:TGID_X_EN: 1
; COMPUTE_PGM_RSRC2:TGID_Y_EN: 0
; COMPUTE_PGM_RSRC2:TGID_Z_EN: 0
; COMPUTE_PGM_RSRC2:TIDIG_COMP_CNT: 0
; COMPUTE_PGM_RSRC3_GFX90A:ACCUM_OFFSET: 34
; COMPUTE_PGM_RSRC3_GFX90A:TG_SPLIT: 0
	.section	.text._Z26kOptimizerStatic8bit2StateI6__halfLi0EEvPT_S2_PhS3_PKffffffifPfS6_S6_S6_S6_S6_ffi,"axG",@progbits,_Z26kOptimizerStatic8bit2StateI6__halfLi0EEvPT_S2_PhS3_PKffffffifPfS6_S6_S6_S6_S6_ffi,comdat
